;; amdgpu-corpus repo=ROCm/rccl kind=compiled arch=gfx1030 opt=O3
	.amdgcn_target "amdgcn-amd-amdhsa--gfx1030"
	.amdhsa_code_object_version 6
	.text
	.p2align	2                               ; -- Begin function _ZN12_GLOBAL__N_17runRingI11rccl_float813FuncPreMulSumIS1_E7ProtoLLLi0ELi1ELi0EEEviiP15ncclDevWorkColl
	.type	_ZN12_GLOBAL__N_17runRingI11rccl_float813FuncPreMulSumIS1_E7ProtoLLLi0ELi1ELi0EEEviiP15ncclDevWorkColl,@function
_ZN12_GLOBAL__N_17runRingI11rccl_float813FuncPreMulSumIS1_E7ProtoLLLi0ELi1ELi0EEEviiP15ncclDevWorkColl: ; @_ZN12_GLOBAL__N_17runRingI11rccl_float813FuncPreMulSumIS1_E7ProtoLLLi0ELi1ELi0EEEviiP15ncclDevWorkColl
; %bb.0:
	s_waitcnt vmcnt(0) expcnt(0) lgkmcnt(0)
	buffer_store_dword v40, off, s[0:3], s32 offset:100 ; 4-byte Folded Spill
	buffer_store_dword v41, off, s[0:3], s32 offset:96 ; 4-byte Folded Spill
	;; [unrolled: 1-line block ×25, first 2 shown]
	buffer_store_dword v89, off, s[0:3], s32 ; 4-byte Folded Spill
	s_trap 2
	s_clause 0x2
	flat_load_dword v10, v[2:3]
	flat_load_dwordx4 v[5:8], v[2:3] offset:72
	flat_load_dwordx2 v[17:18], v[2:3] offset:88
	v_mov_b32_e32 v4, v0
                                        ; implicit-def: $vgpr25_vgpr26
	s_waitcnt vmcnt(2) lgkmcnt(2)
	v_not_b32_sdwa v0, v10 dst_sel:DWORD dst_unused:UNUSED_PAD src0_sel:BYTE_0
	ds_read_b32 v9, v0
	ds_read_b64 v[23:24], v0
	v_add_nc_u32_sdwa v11, v10, v0 dst_sel:DWORD dst_unused:UNUSED_PAD src0_sel:BYTE_1 src1_sel:DWORD
	v_ashrrev_i32_e32 v12, 31, v11
	s_waitcnt vmcnt(1) lgkmcnt(3)
	v_mul_lo_u32 v13, v8, v11
	v_mad_u64_u32 v[19:20], null, v7, v11, 0
	v_mul_lo_u32 v11, v7, v12
	v_add3_u32 v54, v20, v11, v13
	s_waitcnt lgkmcnt(1)
	v_readfirstlane_b32 s14, v9
	v_cmp_ne_u32_sdwa s4, v9, v10 src0_sel:DWORD src1_sel:BYTE_0
                                        ; implicit-def: $vgpr20_vgpr21
	s_and_saveexec_b32 s5, s4
	s_xor_b32 s4, exec_lo, s5
	s_cbranch_execz .LBB0_6
; %bb.1:
	v_cmp_ne_u32_sdwa s5, v9, v10 src0_sel:DWORD src1_sel:BYTE_1
                                        ; implicit-def: $vgpr20_vgpr21
                                        ; implicit-def: $vgpr25_vgpr26
	s_and_saveexec_b32 s6, s5
	s_xor_b32 s5, exec_lo, s6
	s_cbranch_execz .LBB0_3
; %bb.2:
	flat_load_dwordx2 v[10:11], v[2:3] offset:96
	v_add_nc_u32_e32 v0, v9, v0
	v_ashrrev_i32_e32 v9, 31, v0
	v_mul_lo_u32 v12, v8, v0
	v_mad_u64_u32 v[25:26], null, v7, v0, v[5:6]
	v_mul_lo_u32 v9, v7, v9
	v_add3_u32 v26, v12, v26, v9
	s_waitcnt vmcnt(0) lgkmcnt(0)
	v_lshrrev_b64 v[20:21], 17, v[10:11]
.LBB0_3:
	s_andn2_saveexec_b32 s5, s5
	s_cbranch_execz .LBB0_5
; %bb.4:
	flat_load_dword v0, v[2:3] offset:100
	v_add_co_u32 v25, vcc_lo, v19, v5
	s_waitcnt vmcnt(1)
	v_mov_b32_e32 v7, v17
	v_add_co_ci_u32_e64 v26, null, v54, v6, vcc_lo
	v_mov_b32_e32 v8, v18
	s_waitcnt vmcnt(0) lgkmcnt(0)
	v_lshrrev_b32_e32 v20, 6, v0
.LBB0_5:
	s_or_b32 exec_lo, exec_lo, s5
.LBB0_6:
	s_andn2_saveexec_b32 s4, s4
	s_cbranch_execz .LBB0_8
; %bb.7:
	flat_load_dwordx2 v[7:8], v[2:3] offset:96
	v_mov_b32_e32 v25, 0
	v_mov_b32_e32 v26, 0
	s_waitcnt vmcnt(0) lgkmcnt(0)
	v_lshlrev_b64 v[20:21], 4, v[7:8]
	v_mov_b32_e32 v8, v6
	v_mov_b32_e32 v7, v5
.LBB0_8:
	s_or_b32 exec_lo, exec_lo, s4
	s_clause 0x3
	flat_load_dwordx2 v[15:16], v[2:3] offset:104
	flat_load_dwordx4 v[9:12], v[2:3] offset:16
	flat_load_ushort v14, v[2:3] offset:8
	flat_load_dword v13, v[2:3] offset:4
	v_mov_b32_e32 v0, 0x7f
	s_mov_b32 s4, 0
	s_waitcnt vmcnt(3) lgkmcnt(3)
	v_cmp_gt_i16_sdwa s5, v15, v0 src0_sel:BYTE_0 src1_sel:DWORD
	s_and_saveexec_b32 s6, s5
	s_xor_b32 s5, exec_lo, s6
	s_cbranch_execnz .LBB0_14
; %bb.9:
	s_or_saveexec_b32 s5, s5
	v_mov_b32_e32 v0, 0x7f800001
	s_xor_b32 exec_lo, exec_lo, s5
	s_cbranch_execnz .LBB0_17
.LBB0_10:
	s_or_b32 exec_lo, exec_lo, s5
	s_and_saveexec_b32 s5, s4
	s_cbranch_execz .LBB0_12
.LBB0_11:
	v_and_b32_e32 v0, 7, v15
	v_bfe_u32 v16, v15, 3, 4
	v_ffbh_u32_e32 v2, v0
	v_cmp_eq_u32_e32 vcc_lo, 0, v16
	v_min_u32_e32 v2, 32, v2
	v_subrev_nc_u32_e32 v3, 28, v2
	v_sub_nc_u32_e32 v2, 29, v2
	v_lshlrev_b32_e32 v3, v3, v15
	v_lshlrev_b32_e32 v15, 24, v15
	v_cndmask_b32_e32 v2, v16, v2, vcc_lo
	v_and_b32_e32 v3, 7, v3
	v_lshl_add_u32 v2, v2, 23, 0x3b800000
	v_cndmask_b32_e32 v0, v0, v3, vcc_lo
	v_and_b32_e32 v3, 0x80000000, v15
	v_lshlrev_b32_e32 v0, 20, v0
	v_or3_b32 v0, v3, v2, v0
.LBB0_12:
	s_or_b32 exec_lo, exec_lo, s5
	s_load_dword s4, s[8:9], 0x0
	v_mov_b32_e32 v3, 0
	s_waitcnt vmcnt(0) lgkmcnt(0)
	v_lshrrev_b64 v[13:14], 31, v[13:14]
	v_and_b32_e32 v38, 31, v4
	v_mov_b32_e32 v27, 0
	v_mov_b32_e32 v28, 0
	s_mov_b32 s6, 0
	v_and_b32_e32 v13, 3, v13
	v_and_b32_e32 v15, 0xffff, v13
	s_cmp_lt_u32 s12, s4
	s_cselect_b32 s4, 12, 18
	s_add_u32 s4, s8, s4
	s_addc_u32 s5, s9, 0
	global_load_ushort v98, v3, s[4:5]
	s_trap 2
	ds_read_b32 v2, v0
	v_cmp_eq_u32_e64 s4, 0, v38
	s_waitcnt lgkmcnt(0)
	v_cmp_gt_i32_e32 vcc_lo, 0, v2
	v_readfirstlane_b32 s5, v2
	s_cbranch_vccnz .LBB0_18
; %bb.13:
	s_trap 2
	ds_read_b64 v[13:14], v0
	v_lshlrev_b64 v[2:3], 3, v[2:3]
	s_mov_b32 s6, 1
	s_waitcnt lgkmcnt(0)
	v_add_co_u32 v2, vcc_lo, v13, v2
	v_add_co_ci_u32_e64 v3, null, v14, v3, vcc_lo
	flat_load_dwordx2 v[2:3], v[2:3]
	s_waitcnt vmcnt(0) lgkmcnt(0)
	v_mad_u64_u32 v[2:3], null, 0xa8, v15, v[2:3]
	s_clause 0x1
	flat_load_dwordx2 v[32:33], v[2:3] offset:504
	flat_load_dwordx2 v[34:35], v[2:3] offset:608
	v_add_co_u32 v29, vcc_lo, 0x1f8, v2
	v_add_co_ci_u32_e64 v30, null, 0, v3, vcc_lo
	v_cndmask_b32_e64 v2, 0, v29, s4
	v_cndmask_b32_e64 v3, 0, v30, s4
	s_branch .LBB0_19
.LBB0_14:
	v_mov_b32_e32 v0, 0x80
	s_mov_b32 s4, -1
	v_cmp_eq_u16_sdwa s7, v15, v0 src0_sel:BYTE_0 src1_sel:DWORD
	s_and_saveexec_b32 s6, s7
; %bb.15:
	s_xor_b32 s4, exec_lo, -1
; %bb.16:
	s_or_b32 exec_lo, exec_lo, s6
	s_and_b32 s4, s4, exec_lo
	s_or_saveexec_b32 s5, s5
	v_mov_b32_e32 v0, 0x7f800001
	s_xor_b32 exec_lo, exec_lo, s5
	s_cbranch_execz .LBB0_10
.LBB0_17:
	v_mov_b32_e32 v0, 0
	s_andn2_b32 s4, s4, exec_lo
	v_cmp_ne_u16_sdwa s6, v15, v0 src0_sel:BYTE_0 src1_sel:DWORD
	s_and_b32 s6, s6, exec_lo
	s_or_b32 s4, s4, s6
	s_or_b32 exec_lo, exec_lo, s5
	s_and_saveexec_b32 s5, s4
	s_cbranch_execnz .LBB0_11
	s_branch .LBB0_12
.LBB0_18:
	v_mov_b32_e32 v29, 0
	v_mov_b32_e32 v2, 0
	;; [unrolled: 1-line block ×4, first 2 shown]
                                        ; implicit-def: $vgpr34_vgpr35
                                        ; implicit-def: $vgpr32_vgpr33
.LBB0_19:
	s_trap 2
	ds_read_b32 v13, v0
	s_waitcnt lgkmcnt(0)
	v_cmp_gt_i32_e32 vcc_lo, 0, v13
	s_cbranch_vccnz .LBB0_21
; %bb.20:
	s_trap 2
	ds_read_b64 v[21:22], v0
	v_mov_b32_e32 v14, 0
	v_lshlrev_b64 v[13:14], 3, v[13:14]
	s_waitcnt lgkmcnt(0)
	v_add_co_u32 v13, vcc_lo, v21, v13
	v_add_co_ci_u32_e64 v14, null, v22, v14, vcc_lo
	v_cmp_eq_u32_e32 vcc_lo, 0, v38
	flat_load_dwordx2 v[13:14], v[13:14]
	s_waitcnt vmcnt(0) lgkmcnt(0)
	v_mad_u64_u32 v[27:28], null, 0xa8, v15, v[13:14]
	s_clause 0x1
	flat_load_dwordx2 v[36:37], v[27:28]
	flat_load_dwordx2 v[21:22], v[27:28] offset:104
	v_cndmask_b32_e32 v16, 0, v28, vcc_lo
	v_cndmask_b32_e32 v15, 0, v27, vcc_lo
	s_branch .LBB0_22
.LBB0_21:
	v_mov_b32_e32 v15, 0
	v_mov_b32_e32 v16, 0
                                        ; implicit-def: $vgpr21_vgpr22
                                        ; implicit-def: $vgpr36_vgpr37
.LBB0_22:
	v_subrev_nc_u32_e32 v13, 32, v1
	v_cmp_gt_u32_e32 vcc_lo, s6, v38
	v_mov_b32_e32 v48, 0
	v_mov_b32_e32 v49, 0
                                        ; implicit-def: $vgpr38_vgpr39
	v_cmp_ge_i32_e64 s4, v4, v13
	v_mov_b32_e32 v13, 0
	v_mov_b32_e32 v14, 0
	s_and_b32 s16, s4, vcc_lo
	s_and_saveexec_b32 s4, s16
	s_cbranch_execz .LBB0_24
; %bb.23:
	s_clause 0x1
	flat_load_dwordx2 v[48:49], v[2:3] offset:56
	flat_load_dwordx2 v[38:39], v[2:3] offset:104
.LBB0_24:
	s_or_b32 exec_lo, exec_lo, s4
	v_mov_b32_e32 v50, 0
	v_mov_b32_e32 v51, 0
	v_cmp_gt_u32_e64 s4, s6, v4
                                        ; implicit-def: $vgpr52_vgpr53
	s_and_saveexec_b32 s6, s4
	s_cbranch_execz .LBB0_26
; %bb.25:
	flat_load_dwordx2 v[50:51], v[15:16] offset:56
	s_waitcnt vmcnt(0) lgkmcnt(0)
	flat_load_dwordx2 v[52:53], v[50:51] glc dlc
	s_waitcnt vmcnt(0)
	flat_load_dwordx4 v[13:16], v[15:16] offset:96
.LBB0_26:
	s_or_b32 exec_lo, exec_lo, s6
	v_mov_b32_e32 v2, 0
	v_mov_b32_e32 v3, 0
	s_mov_b32 s17, exec_lo
	v_cmpx_ne_u64_e32 0, v[7:8]
	s_cbranch_execnz .LBB0_42
; %bb.27:
	s_or_b32 exec_lo, exec_lo, s17
	s_and_saveexec_b32 s5, s16
	s_cbranch_execnz .LBB0_1000
.LBB0_28:
	s_or_b32 exec_lo, exec_lo, s5
	s_and_saveexec_b32 s5, s4
	s_cbranch_execz .LBB0_30
.LBB0_29:
	s_waitcnt vmcnt(0) lgkmcnt(0)
	flat_store_dwordx2 v[27:28], v[15:16] offset:104
.LBB0_30:
	s_or_b32 exec_lo, exec_lo, s5
	s_mov_b32 s4, exec_lo
	v_cmpx_ne_u32_e32 32, v1
	s_cbranch_execz .LBB0_1007
; %bb.31:
	s_waitcnt vmcnt(0)
	v_cmp_ne_u32_sdwa s5, v1, v98 src0_sel:DWORD src1_sel:WORD_0
	s_and_saveexec_b32 s6, s5
	s_xor_b32 s5, exec_lo, s6
	s_cbranch_execz .LBB0_1005
; %bb.32:
	v_and_b32_e32 v0, 31, v31
	s_mov_b32 s6, exec_lo
	v_cmpx_eq_u32_e32 0, v0
	s_cbranch_execz .LBB0_1004
; %bb.33:
	s_mov_b32 s8, exec_lo
	s_mov_b32 s7, exec_lo
	v_mbcnt_lo_u32_b32 v0, s8, 0
	s_waitcnt lgkmcnt(0)
	s_waitcnt_vscnt null, 0x0
	buffer_gl1_inv
	buffer_gl0_inv
	v_cmpx_eq_u32_e32 0, v0
	s_cbranch_execz .LBB0_35
; %bb.34:
	s_bcnt1_i32_b32 s8, s8
	v_mov_b32_e32 v5, 0
	v_mov_b32_e32 v4, s8
	ds_add_u64 v0, v[4:5]
	s_trap 2
.LBB0_35:
	s_or_b32 exec_lo, exec_lo, s7
	s_trap 2
	ds_read_b64 v[4:5], v0
	s_waitcnt lgkmcnt(0)
	buffer_gl0_inv
	v_lshrrev_b32_e32 v0, 5, v1
	s_mov_b32 s7, exec_lo
	v_add_co_u32 v0, vcc_lo, v2, v0
	v_add_co_ci_u32_e64 v1, null, 0, v3, vcc_lo
	v_cmpx_lt_u64_e64 v[4:5], v[0:1]
	s_cbranch_execz .LBB0_1003
; %bb.36:
	s_mov_b32 s8, 0
	s_mov_b32 s11, 0
                                        ; implicit-def: $sgpr9
                                        ; implicit-def: $sgpr10
	s_inst_prefetch 0x1
	s_branch .LBB0_38
	.p2align	6
.LBB0_37:                               ;   in Loop: Header=BB0_38 Depth=1
	s_or_b32 exec_lo, exec_lo, s13
	s_and_b32 s12, exec_lo, s14
	s_or_b32 s8, s12, s8
	s_andn2_b32 s9, s9, exec_lo
	s_and_b32 s12, s10, exec_lo
	s_or_b32 s9, s9, s12
	s_andn2_b32 exec_lo, exec_lo, s8
	s_cbranch_execz .LBB0_1001
.LBB0_38:                               ; =>This Inner Loop Header: Depth=1
	s_add_i32 s11, s11, 1
	s_cmpk_lg_i32 s11, 0x2710
	s_cselect_b32 s12, -1, 0
	s_and_b32 vcc_lo, exec_lo, s12
	s_cbranch_vccz .LBB0_40
; %bb.39:                               ;   in Loop: Header=BB0_38 Depth=1
	s_mov_b32 s14, -1
	s_or_b32 s10, s10, exec_lo
	s_and_saveexec_b32 s13, s12
	s_cbranch_execz .LBB0_37
	s_branch .LBB0_41
	.p2align	6
.LBB0_40:                               ;   in Loop: Header=BB0_38 Depth=1
	s_trap 2
	ds_read_b64 v[2:3], v0
	s_andn2_b32 s12, s12, exec_lo
	s_mov_b32 s11, 0
	s_waitcnt lgkmcnt(0)
	flat_load_dword v2, v[2:3] glc dlc
	s_waitcnt vmcnt(0) lgkmcnt(0)
	buffer_gl1_inv
	buffer_gl0_inv
	v_cmp_eq_u32_e32 vcc_lo, 0, v2
	s_and_b32 s13, vcc_lo, exec_lo
	s_or_b32 s12, s12, s13
	s_mov_b32 s14, -1
	s_or_b32 s10, s10, exec_lo
	s_and_saveexec_b32 s13, s12
	s_cbranch_execz .LBB0_37
.LBB0_41:                               ;   in Loop: Header=BB0_38 Depth=1
	s_sleep 1
	s_trap 2
	ds_read_b64 v[2:3], v0
	s_waitcnt lgkmcnt(0)
	buffer_gl0_inv
	s_andn2_b32 s10, s10, exec_lo
	v_cmp_ge_u64_e32 vcc_lo, v[2:3], v[0:1]
	s_orn2_b32 s14, vcc_lo, exec_lo
	s_branch .LBB0_37
.LBB0_42:
	s_ashr_i32 s6, s5, 31
	s_ashr_i32 s15, s14, 31
	s_lshr_b32 s6, s6, 29
	v_add_co_u32 v2, vcc_lo, v17, v5
	s_add_i32 s5, s5, s6
	s_lshl_b64 s[6:7], s[14:15], 2
	v_add_co_ci_u32_e64 v3, null, v18, v6, vcc_lo
	v_add_co_u32 v5, vcc_lo, v23, s6
	v_add_co_ci_u32_e64 v6, null, s7, v24, vcc_lo
	v_lshlrev_b32_e32 v101, 3, v4
	v_mov_b32_e32 v55, 0
	v_add_co_u32 v99, vcc_lo, v2, v19
	v_add_co_ci_u32_e64 v100, null, v3, v54, vcc_lo
	v_add_co_u32 v66, vcc_lo, v5, -4
	v_and_b32_e32 v2, 31, v31
	v_add_co_ci_u32_e64 v67, null, -1, v6, vcc_lo
	v_add_co_u32 v112, vcc_lo, v11, v101
	v_mov_b32_e32 v5, v55
	s_ashr_i32 s8, s5, 3
	v_add_co_ci_u32_e64 v113, null, 0, v12, vcc_lo
	v_add_co_u32 v114, vcc_lo, v9, v101
	s_and_b32 s15, s8, -16
	v_cmp_eq_u32_e64 s8, 0, v2
	v_add_co_ci_u32_e64 v115, null, 0, v10, vcc_lo
	v_add_co_u32 v2, vcc_lo, v25, v11
	v_lshlrev_b64 v[9:10], 4, v[4:5]
	v_add_co_ci_u32_e64 v3, null, v26, v12, vcc_lo
	v_add_co_u32 v5, vcc_lo, v2, v101
	v_mov_b32_e32 v2, v55
	v_add_co_ci_u32_e64 v6, null, 0, v3, vcc_lo
	s_waitcnt vmcnt(1) lgkmcnt(1)
	v_add_co_u32 v117, vcc_lo, v36, v9
	s_ashr_i32 s18, s5, 7
	v_mov_b32_e32 v68, 0
	v_cmp_ne_u64_e64 s5, 0, v[50:51]
	s_waitcnt vmcnt(0) lgkmcnt(0)
	v_cmp_ne_u64_e64 s6, 0, v[13:14]
	v_cmp_ne_u64_e64 s9, 0, v[48:49]
	v_add_co_ci_u32_e64 v118, null, v37, v10, vcc_lo
	v_lshlrev_b64 v[9:10], 4, v[1:2]
	v_mov_b32_e32 v2, 0
	v_and_b32_e32 v64, 0x1fffff0, v20
	v_mov_b32_e32 v65, v55
	v_mov_b32_e32 v69, 0
	v_cmp_ne_u32_e64 s7, 32, v1
	v_cmp_ne_u32_sdwa s19, v1, v98 src0_sel:DWORD src1_sel:WORD_0
	v_lshrrev_b32_e32 v102, 5, v1
	v_lshlrev_b32_e32 v103, 3, v1
	v_lshlrev_b32_e32 v116, 6, v1
	v_mov_b32_e32 v119, 1
	v_mov_b32_e32 v40, 0x7f
	v_mov_b32_e32 v41, 0x80
	v_mov_b32_e32 v42, 0xffff
	v_mov_b32_e32 v43, 24
	v_mov_b32_e32 v44, 0xff
	v_mov_b32_e32 v3, 0
	v_mov_b32_e32 v45, 0
	s_cmp_gt_i32 s14, 2
	s_mov_b32 s13, 0
	s_cselect_b32 s21, -1, 0
	s_mov_b32 s20, 0
	s_branch .LBB0_44
.LBB0_43:                               ;   in Loop: Header=BB0_44 Depth=1
	s_or_b32 exec_lo, exec_lo, s10
	v_add_co_u32 v68, vcc_lo, v68, v64
	v_add_co_ci_u32_e64 v69, null, 0, v69, vcc_lo
	v_add_co_u32 v34, vcc_lo, v34, 1
	v_add_co_ci_u32_e64 v35, null, 0, v35, vcc_lo
	v_cmp_ge_u64_e32 vcc_lo, v[68:69], v[7:8]
	v_add_co_u32 v5, s10, v5, v64
	v_add_co_ci_u32_e64 v6, null, 0, v6, s10
	s_or_b32 s20, vcc_lo, s20
	s_andn2_b32 exec_lo, exec_lo, s20
	s_cbranch_execz .LBB0_999
.LBB0_44:                               ; =>This Loop Header: Depth=1
                                        ;     Child Loop BB0_49 Depth 2
                                        ;     Child Loop BB0_68 Depth 2
	;; [unrolled: 1-line block ×5, first 2 shown]
                                        ;       Child Loop BB0_226 Depth 3
                                        ;       Child Loop BB0_245 Depth 3
	;; [unrolled: 1-line block ×3, first 2 shown]
                                        ;         Child Loop BB0_275 Depth 4
                                        ;       Child Loop BB0_609 Depth 3
                                        ;       Child Loop BB0_262 Depth 3
                                        ;     Child Loop BB0_625 Depth 2
                                        ;       Child Loop BB0_633 Depth 3
                                        ;     Child Loop BB0_987 Depth 2
	s_waitcnt vmcnt(0) lgkmcnt(0)
	flat_load_dword v19, v[66:67]
	v_sub_co_u32 v17, vcc_lo, v7, v68
	v_sub_co_ci_u32_e64 v18, null, v8, v69, vcc_lo
	v_cmp_lt_u64_e32 vcc_lo, v[64:65], v[17:18]
	v_cndmask_b32_e32 v20, v17, v64, vcc_lo
	v_lshl_add_u32 v17, v20, 1, 14
	v_and_b32_e32 v47, 0x7fffff0, v17
	s_and_saveexec_b32 s11, s5
	s_cbranch_execz .LBB0_60
; %bb.45:                               ;   in Loop: Header=BB0_44 Depth=1
	v_add_co_u32 v17, vcc_lo, v15, 1
	v_add_co_ci_u32_e64 v18, null, 0, v16, vcc_lo
	v_add_co_u32 v70, vcc_lo, v52, 8
	v_add_co_ci_u32_e64 v71, null, 0, v53, vcc_lo
	s_mov_b32 s12, exec_lo
	v_cmpx_lt_u64_e64 v[70:71], v[17:18]
	s_cbranch_execz .LBB0_57
; %bb.46:                               ;   in Loop: Header=BB0_44 Depth=1
	s_mov_b32 s22, 0
	s_mov_b32 s26, 0
	v_cmp_eq_u32_e32 vcc_lo, 0, v45
                                        ; implicit-def: $sgpr23
                                        ; implicit-def: $sgpr24
                                        ; implicit-def: $sgpr25
	s_branch .LBB0_49
.LBB0_47:                               ;   in Loop: Header=BB0_49 Depth=2
	s_or_b32 exec_lo, exec_lo, s41
	s_andn2_b32 s10, s25, exec_lo
	s_and_b32 s25, s29, exec_lo
	s_andn2_b32 s24, s24, exec_lo
	s_and_b32 s28, s28, exec_lo
	s_or_b32 s25, s10, s25
	s_or_b32 s24, s24, s28
.LBB0_48:                               ;   in Loop: Header=BB0_49 Depth=2
	s_or_b32 exec_lo, exec_lo, s27
	s_and_b32 s10, exec_lo, s24
	s_or_b32 s22, s10, s22
	s_andn2_b32 s10, s23, exec_lo
	s_and_b32 s23, s25, exec_lo
	s_or_b32 s23, s10, s23
	s_andn2_b32 exec_lo, exec_lo, s22
	s_cbranch_execz .LBB0_54
.LBB0_49:                               ;   Parent Loop BB0_44 Depth=1
                                        ; =>  This Inner Loop Header: Depth=2
	s_sleep 1
	s_waitcnt vmcnt(0) lgkmcnt(0)
	flat_load_dwordx2 v[52:53], v[50:51] glc dlc
	v_mov_b32_e32 v45, 1
	s_or_b32 s25, s25, exec_lo
	s_or_b32 s24, s24, exec_lo
                                        ; implicit-def: $vgpr16
	s_and_saveexec_b32 s27, vcc_lo
	s_cbranch_execz .LBB0_48
; %bb.50:                               ;   in Loop: Header=BB0_49 Depth=2
	s_add_i32 s26, s26, 1
	s_mov_b32 s28, -1
	s_cmpk_lg_i32 s26, 0x2710
	s_mov_b32 s29, -1
	s_cselect_b32 s40, -1, 0
	s_cmpk_eq_i32 s26, 0x2710
                                        ; implicit-def: $vgpr16
	s_cbranch_scc1 .LBB0_52
; %bb.51:                               ;   in Loop: Header=BB0_49 Depth=2
	v_mov_b32_e32 v45, 1
	s_and_saveexec_b32 s41, s40
	s_cbranch_execz .LBB0_47
	s_branch .LBB0_53
.LBB0_52:                               ;   in Loop: Header=BB0_49 Depth=2
	s_trap 2
	ds_read_b64 v[70:71], v0
	s_andn2_b32 s26, s40, exec_lo
	s_mov_b32 s29, 0
	s_waitcnt vmcnt(0) lgkmcnt(0)
	s_waitcnt_vscnt null, 0x0
	flat_load_dword v16, v[70:71] glc dlc
	s_waitcnt vmcnt(0) lgkmcnt(0)
	buffer_gl1_inv
	buffer_gl0_inv
	v_cmp_eq_u32_e64 s10, 0, v16
	s_and_b32 s10, s10, exec_lo
	s_or_b32 s40, s26, s10
	s_mov_b32 s26, 0
	v_mov_b32_e32 v45, 1
	s_and_saveexec_b32 s41, s40
	s_cbranch_execz .LBB0_47
.LBB0_53:                               ;   in Loop: Header=BB0_49 Depth=2
	s_waitcnt vmcnt(0) lgkmcnt(0)
	v_add_co_u32 v70, s10, v52, 8
	v_add_co_ci_u32_e64 v71, null, 0, v53, s10
	v_mov_b32_e32 v45, 0
	s_or_b32 s29, s29, exec_lo
	v_cmp_ge_u64_e64 s10, v[70:71], v[17:18]
	s_orn2_b32 s28, s10, exec_lo
	s_branch .LBB0_47
.LBB0_54:                               ;   in Loop: Header=BB0_44 Depth=1
	s_or_b32 exec_lo, exec_lo, s22
	s_xor_b32 s10, s23, -1
	s_and_saveexec_b32 s22, s10
	s_xor_b32 s10, exec_lo, s22
	s_cbranch_execz .LBB0_56
; %bb.55:                               ;   in Loop: Header=BB0_44 Depth=1
	v_mov_b32_e32 v45, 1
	s_waitcnt vmcnt(0) lgkmcnt(0)
	s_waitcnt_vscnt null, 0x0
	ds_write_b32 v0, v16
	s_trap 2
.LBB0_56:                               ;   in Loop: Header=BB0_44 Depth=1
	s_or_b32 exec_lo, exec_lo, s10
.LBB0_57:                               ;   in Loop: Header=BB0_44 Depth=1
	s_or_b32 exec_lo, exec_lo, s12
	s_and_saveexec_b32 s10, s6
	s_cbranch_execz .LBB0_59
; %bb.58:                               ;   in Loop: Header=BB0_44 Depth=1
	v_and_b32_e32 v54, 0x7ffffff8, v15
	v_and_b32_e32 v16, 7, v15
	v_cmp_eq_u64_e32 vcc_lo, 0x7ffffff8, v[54:55]
	v_mad_u64_u32 v[70:71], null, v16, 24, v[13:14]
	v_cndmask_b32_e64 v15, v47, s15, vcc_lo
	v_ashrrev_i32_e32 v16, 31, v15
	flat_store_dwordx2 v[70:71], v[15:16] offset:8
	s_waitcnt_vscnt null, 0x0
.LBB0_59:                               ;   in Loop: Header=BB0_44 Depth=1
	s_or_b32 exec_lo, exec_lo, s10
	v_mov_b32_e32 v15, v17
	v_mov_b32_e32 v16, v18
.LBB0_60:                               ;   in Loop: Header=BB0_44 Depth=1
	s_or_b32 exec_lo, exec_lo, s11
	s_and_saveexec_b32 s10, s7
	s_cbranch_execz .LBB0_79
; %bb.61:                               ;   in Loop: Header=BB0_44 Depth=1
	s_and_saveexec_b32 s11, s19
	s_xor_b32 s11, exec_lo, s11
	s_cbranch_execz .LBB0_76
; %bb.62:                               ;   in Loop: Header=BB0_44 Depth=1
	s_and_saveexec_b32 s12, s8
	s_cbranch_execz .LBB0_75
; %bb.63:                               ;   in Loop: Header=BB0_44 Depth=1
	s_mov_b32 s23, exec_lo
	s_mov_b32 s22, exec_lo
	v_mbcnt_lo_u32_b32 v17, s23, 0
	s_waitcnt vmcnt(0) lgkmcnt(0)
	s_waitcnt_vscnt null, 0x0
	buffer_gl1_inv
	buffer_gl0_inv
	v_cmpx_eq_u32_e32 0, v17
	s_cbranch_execz .LBB0_65
; %bb.64:                               ;   in Loop: Header=BB0_44 Depth=1
	s_bcnt1_i32_b32 s23, s23
	v_mov_b32_e32 v54, s23
	ds_add_u64 v0, v[54:55]
	s_trap 2
.LBB0_65:                               ;   in Loop: Header=BB0_44 Depth=1
	s_or_b32 exec_lo, exec_lo, s22
	s_trap 2
	ds_read_b64 v[17:18], v0
	s_waitcnt lgkmcnt(0)
	buffer_gl0_inv
	v_add_co_u32 v2, vcc_lo, v2, v102
	v_add_co_ci_u32_e64 v3, null, 0, v3, vcc_lo
	s_mov_b32 s22, exec_lo
	v_cmpx_lt_u64_e64 v[17:18], v[2:3]
	s_cbranch_execz .LBB0_74
; %bb.66:                               ;   in Loop: Header=BB0_44 Depth=1
	s_mov_b32 s23, 0
	s_mov_b32 s26, 0
                                        ; implicit-def: $sgpr24
                                        ; implicit-def: $sgpr25
	s_inst_prefetch 0x1
	s_branch .LBB0_68
	.p2align	6
.LBB0_67:                               ;   in Loop: Header=BB0_68 Depth=2
	s_or_b32 exec_lo, exec_lo, s28
	s_and_b32 s27, exec_lo, s29
	s_or_b32 s23, s27, s23
	s_andn2_b32 s24, s24, exec_lo
	s_and_b32 s27, s25, exec_lo
	s_or_b32 s24, s24, s27
	s_andn2_b32 exec_lo, exec_lo, s23
	s_cbranch_execz .LBB0_72
.LBB0_68:                               ;   Parent Loop BB0_44 Depth=1
                                        ; =>  This Inner Loop Header: Depth=2
	s_add_i32 s26, s26, 1
	s_cmpk_lg_i32 s26, 0x2710
	s_cselect_b32 s27, -1, 0
	s_and_b32 vcc_lo, exec_lo, s27
	s_cbranch_vccz .LBB0_70
; %bb.69:                               ;   in Loop: Header=BB0_68 Depth=2
	s_mov_b32 s29, -1
	s_or_b32 s25, s25, exec_lo
	s_and_saveexec_b32 s28, s27
	s_cbranch_execz .LBB0_67
	s_branch .LBB0_71
	.p2align	6
.LBB0_70:                               ;   in Loop: Header=BB0_68 Depth=2
	s_trap 2
	ds_read_b64 v[17:18], v0
	s_andn2_b32 s27, s27, exec_lo
	s_mov_b32 s26, 0
	s_waitcnt lgkmcnt(0)
	flat_load_dword v17, v[17:18] glc dlc
	s_waitcnt vmcnt(0) lgkmcnt(0)
	buffer_gl1_inv
	buffer_gl0_inv
	v_cmp_eq_u32_e32 vcc_lo, 0, v17
	s_and_b32 s28, vcc_lo, exec_lo
	s_or_b32 s27, s27, s28
	s_mov_b32 s29, -1
	s_or_b32 s25, s25, exec_lo
	s_and_saveexec_b32 s28, s27
	s_cbranch_execz .LBB0_67
.LBB0_71:                               ;   in Loop: Header=BB0_68 Depth=2
	s_sleep 1
	s_trap 2
	ds_read_b64 v[17:18], v0
	s_waitcnt lgkmcnt(0)
	buffer_gl0_inv
	s_andn2_b32 s25, s25, exec_lo
	v_cmp_ge_u64_e32 vcc_lo, v[17:18], v[2:3]
	s_orn2_b32 s29, vcc_lo, exec_lo
	s_branch .LBB0_67
.LBB0_72:                               ;   in Loop: Header=BB0_44 Depth=1
	s_inst_prefetch 0x2
	s_or_b32 exec_lo, exec_lo, s23
	s_and_saveexec_b32 s23, s24
	s_xor_b32 s23, exec_lo, s23
	s_cbranch_execz .LBB0_74
; %bb.73:                               ;   in Loop: Header=BB0_44 Depth=1
	ds_write_b32 v0, v119
	s_trap 2
.LBB0_74:                               ;   in Loop: Header=BB0_44 Depth=1
	s_or_b32 exec_lo, exec_lo, s22
	;;#ASMSTART
	s_wakeup
	;;#ASMEND
.LBB0_75:                               ;   in Loop: Header=BB0_44 Depth=1
	s_or_b32 exec_lo, exec_lo, s12
.LBB0_76:                               ;   in Loop: Header=BB0_44 Depth=1
	s_andn2_saveexec_b32 s11, s11
	s_cbranch_execz .LBB0_78
; %bb.77:                               ;   in Loop: Header=BB0_44 Depth=1
	s_waitcnt vmcnt(0) lgkmcnt(0)
	s_waitcnt_vscnt null, 0x0
	buffer_gl1_inv
	buffer_gl0_inv
	s_barrier
.LBB0_78:                               ;   in Loop: Header=BB0_44 Depth=1
	s_or_b32 exec_lo, exec_lo, s11
.LBB0_79:                               ;   in Loop: Header=BB0_44 Depth=1
	s_or_b32 exec_lo, exec_lo, s10
	v_sub_nc_u32_e32 v46, v20, v101
	v_and_b32_e32 v71, 7, v21
	v_add_nc_u32_e32 v18, 1, v21
	v_mov_b32_e32 v70, v4
	v_cmp_lt_i32_e64 s10, 0, v46
	s_and_saveexec_b32 s12, s10
	s_cbranch_execz .LBB0_215
; %bb.80:                               ;   in Loop: Header=BB0_44 Depth=1
	v_mul_lo_u32 v82, v71, s18
	s_waitcnt vmcnt(0) lgkmcnt(0)
	v_ashrrev_i32_e32 v17, 31, v19
	v_mad_u64_u32 v[80:81], null, v99, v19, v[5:6]
	v_mul_lo_u32 v54, v100, v19
	v_mul_lo_u32 v70, v99, v19
	v_mul_lo_u32 v17, v99, v17
	v_mov_b32_e32 v84, v46
	v_ashrrev_i32_e32 v83, 31, v82
	s_mov_b32 s22, 0
	v_add_lshl_u32 v85, v5, v70, 3
	v_lshlrev_b64 v[19:20], 4, v[82:83]
	v_add3_u32 v81, v54, v81, v17
	v_mov_b32_e32 v70, v4
	v_add_co_u32 v82, vcc_lo, v117, v19
	v_add_co_ci_u32_e64 v83, null, v118, v20, vcc_lo
	s_branch .LBB0_84
.LBB0_81:                               ;   in Loop: Header=BB0_84 Depth=2
	s_or_b32 exec_lo, exec_lo, s11
	v_lshrrev_b32_e32 v57, 20, v57
	v_min_i32_e32 v58, 15, v56
	v_cmp_gt_i32_e32 vcc_lo, 16, v56
	v_and_b32_sdwa v86, v86, v41 dst_sel:DWORD dst_unused:UNUSED_PAD src0_sel:BYTE_3 src1_sel:DWORD
	v_lshlrev_b32_e32 v58, 3, v58
	v_cndmask_b32_e32 v57, 7, v57, vcc_lo
	v_and_b32_e32 v58, 0xf8, v58
	v_and_b32_e32 v59, 7, v57
	v_or_b32_e32 v56, v56, v57
	v_or3_b32 v86, v86, v58, v59
	v_cmp_ne_u32_e32 vcc_lo, 0, v56
	v_lshlrev_b32_e32 v86, 8, v86
	v_cndmask_b32_e32 v56, 0, v86, vcc_lo
.LBB0_82:                               ;   in Loop: Header=BB0_84 Depth=2
	s_or_b32 exec_lo, exec_lo, s24
.LBB0_83:                               ;   in Loop: Header=BB0_84 Depth=2
	s_or_b32 exec_lo, exec_lo, s23
	v_or_b32_e32 v17, v19, v17
	v_or_b32_sdwa v19, v54, v20 dst_sel:WORD_1 dst_unused:UNUSED_PAD src0_sel:DWORD src1_sel:DWORD
	v_or_b32_e32 v54, v96, v87
	v_or_b32_sdwa v86, v56, v97 dst_sel:WORD_1 dst_unused:UNUSED_PAD src0_sel:DWORD src1_sel:DWORD
	v_mov_b32_e32 v20, v18
	v_sub_nc_u32_e32 v84, v84, v103
	v_or3_b32 v17, v17, v19, 0
	v_add_co_u32 v80, vcc_lo, v80, v103
	v_or3_b32 v19, v54, v86, 0
	v_add_co_ci_u32_e64 v81, null, 0, v81, vcc_lo
	v_cmp_gt_i32_e32 vcc_lo, 1, v84
	v_add_nc_u32_e32 v70, v70, v1
	global_store_dwordx4 v[82:83], v[17:20], off
	v_add_co_u32 v82, s11, v82, v9
	v_add_nc_u32_e32 v85, v85, v116
	v_add_co_ci_u32_e64 v83, null, v83, v10, s11
	s_or_b32 s22, vcc_lo, s22
	s_andn2_b32 exec_lo, exec_lo, s22
	s_cbranch_execz .LBB0_214
.LBB0_84:                               ;   Parent Loop BB0_44 Depth=1
                                        ; =>  This Inner Loop Header: Depth=2
	v_and_b32_e32 v19, -4, v80
	v_mov_b32_e32 v20, v81
	v_min_u32_e32 v54, 8, v84
	v_and_b32_e32 v86, 3, v80
	v_mov_b32_e32 v87, 0
	s_mov_b32 s11, exec_lo
	global_load_dword v17, v[19:20], off slc
	v_add_nc_u32_e32 v54, v86, v54
	v_mov_b32_e32 v86, 0
	v_cmpx_lt_u32_e32 4, v54
	s_cbranch_execz .LBB0_86
; %bb.85:                               ;   in Loop: Header=BB0_84 Depth=2
	global_load_dword v87, v[19:20], off offset:4 slc
.LBB0_86:                               ;   in Loop: Header=BB0_84 Depth=2
	s_or_b32 exec_lo, exec_lo, s11
	s_mov_b32 s11, exec_lo
	v_cmpx_lt_u64_e32 8, v[54:55]
	s_cbranch_execz .LBB0_88
; %bb.87:                               ;   in Loop: Header=BB0_84 Depth=2
	global_load_dword v86, v[19:20], off offset:8 slc
.LBB0_88:                               ;   in Loop: Header=BB0_84 Depth=2
	s_or_b32 exec_lo, exec_lo, s11
	s_waitcnt vmcnt(0)
	v_alignbit_b32 v54, v87, v17, v85
	s_mov_b32 s11, 0
	v_cmp_gt_i16_sdwa s23, v54, v40 src0_sel:BYTE_0 src1_sel:DWORD
	s_and_saveexec_b32 s24, s23
	s_xor_b32 s23, exec_lo, s24
	s_cbranch_execnz .LBB0_182
; %bb.89:                               ;   in Loop: Header=BB0_84 Depth=2
	s_or_saveexec_b32 s23, s23
	v_mov_b32_e32 v17, 0x7f800001
	s_xor_b32 exec_lo, exec_lo, s23
	s_cbranch_execnz .LBB0_185
.LBB0_90:                               ;   in Loop: Header=BB0_84 Depth=2
	s_or_b32 exec_lo, exec_lo, s23
	s_and_saveexec_b32 s23, s11
	s_cbranch_execz .LBB0_92
.LBB0_91:                               ;   in Loop: Header=BB0_84 Depth=2
	v_and_b32_e32 v17, 7, v54
	v_bfe_u32 v96, v54, 3, 4
	v_lshlrev_b32_e32 v97, 24, v54
	v_ffbh_u32_e32 v19, v17
	v_cmp_eq_u32_e32 vcc_lo, 0, v96
	v_min_u32_e32 v19, 32, v19
	v_subrev_nc_u32_e32 v20, 28, v19
	v_sub_nc_u32_e32 v19, 29, v19
	v_lshlrev_b32_e32 v20, v20, v54
	v_cndmask_b32_e32 v19, v96, v19, vcc_lo
	v_and_b32_e32 v20, 7, v20
	v_lshl_add_u32 v19, v19, 23, 0x3b800000
	v_cndmask_b32_e32 v17, v17, v20, vcc_lo
	v_and_b32_e32 v20, 0x80000000, v97
	v_lshlrev_b32_e32 v17, 20, v17
	v_or3_b32 v17, v20, v19, v17
.LBB0_92:                               ;   in Loop: Header=BB0_84 Depth=2
	s_or_b32 exec_lo, exec_lo, s23
	v_mul_f32_e32 v19, v0, v17
	v_and_b32_e32 v17, 0x7f800000, v19
	v_cmp_ne_u32_e32 vcc_lo, 0x7f800000, v17
	v_mov_b32_e32 v17, 0x80
	s_and_saveexec_b32 s23, vcc_lo
	s_cbranch_execz .LBB0_100
; %bb.93:                               ;   in Loop: Header=BB0_84 Depth=2
	v_mov_b32_e32 v17, 0
	s_mov_b32 s24, exec_lo
	v_cmpx_ne_u32_e32 0, v19
	s_cbranch_execz .LBB0_99
; %bb.94:                               ;   in Loop: Header=BB0_84 Depth=2
	v_bfe_u32 v17, v19, 23, 8
	v_and_b32_e32 v20, 0x7fffff, v19
	v_sub_nc_u32_e32 v96, 0x78, v17
	v_cmp_gt_u32_e32 vcc_lo, 0x79, v17
	v_or_b32_e32 v97, 0x800000, v20
	v_cndmask_b32_e32 v96, 0, v96, vcc_lo
	v_cmp_eq_u32_e32 vcc_lo, 0, v17
	v_add_nc_u32_e32 v17, 0xffffff89, v17
	v_cndmask_b32_e64 v96, v96, 0x77, vcc_lo
	v_cndmask_b32_e32 v20, v97, v20, vcc_lo
	v_cndmask_b32_e64 v17, v17, 0xffffff8a, vcc_lo
	v_lshl_add_u32 v97, 0x100000, v96, -1
	v_lshrrev_b32_e32 v56, v96, v20
	v_lshlrev_b32_e64 v58, v96, 0x80000
	v_add_nc_u32_e32 v96, v96, v17
	v_and_b32_e32 v20, v97, v20
	v_bfe_u32 v57, v56, 20, 1
	v_cmp_eq_u32_e64 s11, v20, v58
	v_add_nc_u32_e32 v97, -1, v57
	v_cndmask_b32_e64 v20, 0, v97, s11
	v_lshrrev_b32_e32 v97, 23, v56
	s_mov_b32 s11, exec_lo
	v_add_nc_u32_e32 v20, v20, v56
	v_xor_b32_e32 v97, 1, v97
	v_and_b32_e32 v17, 0xfffff, v20
	v_add_nc_u32_e32 v20, v17, v56
                                        ; implicit-def: $vgpr17
	v_cmpx_ne_u32_e64 v96, v97
	s_xor_b32 s11, exec_lo, s11
; %bb.95:                               ;   in Loop: Header=BB0_84 Depth=2
	v_cmp_lt_u32_e32 vcc_lo, 0xffffff, v20
	v_sub_nc_u32_e32 v17, v96, v97
	v_cndmask_b32_e64 v96, 0, 1, vcc_lo
	v_add_co_ci_u32_e64 v17, null, 0, v17, vcc_lo
	v_lshrrev_b32_e32 v20, v96, v20
; %bb.96:                               ;   in Loop: Header=BB0_84 Depth=2
	s_andn2_saveexec_b32 s11, s11
; %bb.97:                               ;   in Loop: Header=BB0_84 Depth=2
	v_bfe_u32 v17, v20, 23, 1
; %bb.98:                               ;   in Loop: Header=BB0_84 Depth=2
	s_or_b32 exec_lo, exec_lo, s11
	v_lshrrev_b32_e32 v20, 20, v20
	v_min_i32_e32 v96, 15, v17
	v_cmp_gt_i32_e32 vcc_lo, 16, v17
	v_and_b32_sdwa v19, v19, v41 dst_sel:DWORD dst_unused:UNUSED_PAD src0_sel:BYTE_3 src1_sel:DWORD
	v_lshlrev_b32_e32 v96, 3, v96
	v_cndmask_b32_e32 v20, 7, v20, vcc_lo
	v_and_b32_e32 v96, 0xf8, v96
	v_and_b32_e32 v97, 7, v20
	v_or_b32_e32 v17, v17, v20
	v_or3_b32 v19, v96, v19, v97
	v_cmp_ne_u32_e32 vcc_lo, 0, v17
	v_cndmask_b32_e32 v17, 0, v19, vcc_lo
.LBB0_99:                               ;   in Loop: Header=BB0_84 Depth=2
	s_or_b32 exec_lo, exec_lo, s24
.LBB0_100:                              ;   in Loop: Header=BB0_84 Depth=2
	s_or_b32 exec_lo, exec_lo, s23
	v_cmp_gt_i16_sdwa s23, v54, v40 src0_sel:BYTE_1 src1_sel:DWORD
	s_mov_b32 s11, 0
	s_and_saveexec_b32 s24, s23
	s_xor_b32 s23, exec_lo, s24
	s_cbranch_execnz .LBB0_186
; %bb.101:                              ;   in Loop: Header=BB0_84 Depth=2
	s_or_saveexec_b32 s23, s23
	v_mov_b32_e32 v19, 0x7f800001
	s_xor_b32 exec_lo, exec_lo, s23
	s_cbranch_execnz .LBB0_189
.LBB0_102:                              ;   in Loop: Header=BB0_84 Depth=2
	s_or_b32 exec_lo, exec_lo, s23
	s_and_saveexec_b32 s23, s11
	s_cbranch_execz .LBB0_104
.LBB0_103:                              ;   in Loop: Header=BB0_84 Depth=2
	v_and_b32_sdwa v19, v42, v54 dst_sel:DWORD dst_unused:UNUSED_PAD src0_sel:DWORD src1_sel:BYTE_1
	v_and_b32_e32 v20, 7, v19
	v_bfe_u32 v56, v19, 3, 4
	v_ffbh_u32_e32 v96, v20
	v_cmp_eq_u32_e32 vcc_lo, 0, v56
	v_min_u32_e32 v96, 32, v96
	v_subrev_nc_u32_e32 v97, 28, v96
	v_sub_nc_u32_e32 v96, 29, v96
	v_lshlrev_b32_e32 v19, v97, v19
	v_lshlrev_b32_sdwa v97, v43, v54 dst_sel:DWORD dst_unused:UNUSED_PAD src0_sel:DWORD src1_sel:BYTE_1
	v_cndmask_b32_e32 v96, v56, v96, vcc_lo
	v_and_b32_e32 v19, 7, v19
	v_lshl_add_u32 v96, v96, 23, 0x3b800000
	v_cndmask_b32_e32 v19, v20, v19, vcc_lo
	v_and_b32_e32 v20, 0x80000000, v97
	v_lshlrev_b32_e32 v19, 20, v19
	v_or3_b32 v19, v20, v96, v19
.LBB0_104:                              ;   in Loop: Header=BB0_84 Depth=2
	s_or_b32 exec_lo, exec_lo, s23
	v_mul_f32_e32 v20, v0, v19
	v_and_b32_e32 v19, 0x7f800000, v20
	v_cmp_ne_u32_e32 vcc_lo, 0x7f800000, v19
	v_mov_b32_e32 v19, 0x8000
	s_and_saveexec_b32 s23, vcc_lo
	s_cbranch_execz .LBB0_112
; %bb.105:                              ;   in Loop: Header=BB0_84 Depth=2
	v_mov_b32_e32 v19, 0
	s_mov_b32 s24, exec_lo
	v_cmpx_ne_u32_e32 0, v20
	s_cbranch_execz .LBB0_111
; %bb.106:                              ;   in Loop: Header=BB0_84 Depth=2
	v_bfe_u32 v19, v20, 23, 8
	v_and_b32_e32 v96, 0x7fffff, v20
	v_sub_nc_u32_e32 v97, 0x78, v19
	v_cmp_gt_u32_e32 vcc_lo, 0x79, v19
	v_or_b32_e32 v56, 0x800000, v96
	v_cndmask_b32_e32 v97, 0, v97, vcc_lo
	v_cmp_eq_u32_e32 vcc_lo, 0, v19
	v_add_nc_u32_e32 v19, 0xffffff89, v19
	v_cndmask_b32_e64 v97, v97, 0x77, vcc_lo
	v_cndmask_b32_e32 v96, v56, v96, vcc_lo
	v_cndmask_b32_e64 v19, v19, 0xffffff8a, vcc_lo
	v_lshl_add_u32 v56, 0x100000, v97, -1
	v_lshrrev_b32_e32 v57, v97, v96
	v_lshlrev_b32_e64 v59, v97, 0x80000
	v_add_nc_u32_e32 v97, v97, v19
	v_and_b32_e32 v96, v56, v96
	v_bfe_u32 v58, v57, 20, 1
	v_cmp_eq_u32_e64 s11, v96, v59
	v_add_nc_u32_e32 v56, -1, v58
	v_cndmask_b32_e64 v96, 0, v56, s11
	v_lshrrev_b32_e32 v56, 23, v57
	s_mov_b32 s11, exec_lo
	v_add_nc_u32_e32 v96, v96, v57
	v_xor_b32_e32 v56, 1, v56
	v_and_b32_e32 v19, 0xfffff, v96
	v_add_nc_u32_e32 v96, v19, v57
                                        ; implicit-def: $vgpr19
	v_cmpx_ne_u32_e64 v97, v56
	s_xor_b32 s11, exec_lo, s11
; %bb.107:                              ;   in Loop: Header=BB0_84 Depth=2
	v_cmp_lt_u32_e32 vcc_lo, 0xffffff, v96
	v_sub_nc_u32_e32 v19, v97, v56
	v_cndmask_b32_e64 v97, 0, 1, vcc_lo
	v_add_co_ci_u32_e64 v19, null, 0, v19, vcc_lo
	v_lshrrev_b32_e32 v96, v97, v96
; %bb.108:                              ;   in Loop: Header=BB0_84 Depth=2
	s_andn2_saveexec_b32 s11, s11
; %bb.109:                              ;   in Loop: Header=BB0_84 Depth=2
	v_bfe_u32 v19, v96, 23, 1
; %bb.110:                              ;   in Loop: Header=BB0_84 Depth=2
	s_or_b32 exec_lo, exec_lo, s11
	v_lshrrev_b32_e32 v96, 20, v96
	v_min_i32_e32 v97, 15, v19
	v_cmp_gt_i32_e32 vcc_lo, 16, v19
	v_and_b32_sdwa v20, v20, v41 dst_sel:DWORD dst_unused:UNUSED_PAD src0_sel:BYTE_3 src1_sel:DWORD
	v_lshlrev_b32_e32 v97, 3, v97
	v_cndmask_b32_e32 v96, 7, v96, vcc_lo
	v_and_b32_e32 v97, 0xf8, v97
	v_and_b32_e32 v56, 7, v96
	v_or_b32_e32 v19, v19, v96
	v_or3_b32 v20, v20, v97, v56
	v_cmp_ne_u32_e32 vcc_lo, 0, v19
	v_lshlrev_b32_e32 v20, 8, v20
	v_cndmask_b32_e32 v19, 0, v20, vcc_lo
.LBB0_111:                              ;   in Loop: Header=BB0_84 Depth=2
	s_or_b32 exec_lo, exec_lo, s24
.LBB0_112:                              ;   in Loop: Header=BB0_84 Depth=2
	s_or_b32 exec_lo, exec_lo, s23
	v_and_b32_sdwa v96, v54, v44 dst_sel:DWORD dst_unused:UNUSED_PAD src0_sel:WORD_1 src1_sel:DWORD
	s_mov_b32 s11, 0
	s_mov_b32 s23, exec_lo
	v_cmpx_lt_i16_e32 0x7f, v96
	s_xor_b32 s23, exec_lo, s23
	s_cbranch_execnz .LBB0_190
; %bb.113:                              ;   in Loop: Header=BB0_84 Depth=2
	s_or_saveexec_b32 s23, s23
	v_mov_b32_e32 v20, 0x7f800001
	s_xor_b32 exec_lo, exec_lo, s23
	s_cbranch_execnz .LBB0_193
.LBB0_114:                              ;   in Loop: Header=BB0_84 Depth=2
	s_or_b32 exec_lo, exec_lo, s23
	s_and_saveexec_b32 s23, s11
	s_cbranch_execz .LBB0_116
.LBB0_115:                              ;   in Loop: Header=BB0_84 Depth=2
	v_bfe_u32 v20, v54, 16, 3
	v_bfe_u32 v56, v54, 19, 4
	v_lshlrev_b32_e32 v57, 8, v54
	v_ffbh_u32_e32 v96, v20
	v_cmp_eq_u32_e32 vcc_lo, 0, v56
	v_min_u32_e32 v96, 32, v96
	v_subrev_nc_u32_e32 v97, 28, v96
	v_sub_nc_u32_e32 v96, 29, v96
	v_lshlrev_b32_sdwa v97, v97, v54 dst_sel:DWORD dst_unused:UNUSED_PAD src0_sel:DWORD src1_sel:WORD_1
	v_cndmask_b32_e32 v96, v56, v96, vcc_lo
	v_and_b32_e32 v97, 7, v97
	v_lshl_add_u32 v96, v96, 23, 0x3b800000
	v_cndmask_b32_e32 v20, v20, v97, vcc_lo
	v_and_b32_e32 v97, 0x80000000, v57
	v_lshlrev_b32_e32 v20, 20, v20
	v_or3_b32 v20, v97, v96, v20
.LBB0_116:                              ;   in Loop: Header=BB0_84 Depth=2
	s_or_b32 exec_lo, exec_lo, s23
	v_mul_f32_e32 v96, v0, v20
	v_and_b32_e32 v20, 0x7f800000, v96
	v_cmp_ne_u32_e32 vcc_lo, 0x7f800000, v20
	v_mov_b32_e32 v20, 0x80
	s_and_saveexec_b32 s23, vcc_lo
	s_cbranch_execz .LBB0_124
; %bb.117:                              ;   in Loop: Header=BB0_84 Depth=2
	v_mov_b32_e32 v20, 0
	s_mov_b32 s24, exec_lo
	v_cmpx_ne_u32_e32 0, v96
	s_cbranch_execz .LBB0_123
; %bb.118:                              ;   in Loop: Header=BB0_84 Depth=2
	v_bfe_u32 v20, v96, 23, 8
	v_and_b32_e32 v97, 0x7fffff, v96
	v_sub_nc_u32_e32 v56, 0x78, v20
	v_cmp_gt_u32_e32 vcc_lo, 0x79, v20
	v_or_b32_e32 v57, 0x800000, v97
	v_cndmask_b32_e32 v56, 0, v56, vcc_lo
	v_cmp_eq_u32_e32 vcc_lo, 0, v20
	v_add_nc_u32_e32 v20, 0xffffff89, v20
	v_cndmask_b32_e64 v56, v56, 0x77, vcc_lo
	v_cndmask_b32_e32 v97, v57, v97, vcc_lo
	v_cndmask_b32_e64 v20, v20, 0xffffff8a, vcc_lo
	v_lshl_add_u32 v57, 0x100000, v56, -1
	v_lshrrev_b32_e32 v58, v56, v97
	v_lshlrev_b32_e64 v60, v56, 0x80000
	v_add_nc_u32_e32 v56, v56, v20
	v_and_b32_e32 v97, v57, v97
	v_bfe_u32 v59, v58, 20, 1
	v_cmp_eq_u32_e64 s11, v97, v60
	v_add_nc_u32_e32 v57, -1, v59
	v_cndmask_b32_e64 v97, 0, v57, s11
	v_lshrrev_b32_e32 v57, 23, v58
	s_mov_b32 s11, exec_lo
	v_add_nc_u32_e32 v97, v97, v58
	v_xor_b32_e32 v57, 1, v57
	v_and_b32_e32 v20, 0xfffff, v97
	v_add_nc_u32_e32 v97, v20, v58
                                        ; implicit-def: $vgpr20
	v_cmpx_ne_u32_e64 v56, v57
	s_xor_b32 s11, exec_lo, s11
; %bb.119:                              ;   in Loop: Header=BB0_84 Depth=2
	v_cmp_lt_u32_e32 vcc_lo, 0xffffff, v97
	v_sub_nc_u32_e32 v20, v56, v57
	v_cndmask_b32_e64 v56, 0, 1, vcc_lo
	v_add_co_ci_u32_e64 v20, null, 0, v20, vcc_lo
	v_lshrrev_b32_e32 v97, v56, v97
; %bb.120:                              ;   in Loop: Header=BB0_84 Depth=2
	s_andn2_saveexec_b32 s11, s11
; %bb.121:                              ;   in Loop: Header=BB0_84 Depth=2
	v_bfe_u32 v20, v97, 23, 1
; %bb.122:                              ;   in Loop: Header=BB0_84 Depth=2
	s_or_b32 exec_lo, exec_lo, s11
	v_lshrrev_b32_e32 v97, 20, v97
	v_min_i32_e32 v56, 15, v20
	v_cmp_gt_i32_e32 vcc_lo, 16, v20
	v_and_b32_sdwa v96, v96, v41 dst_sel:DWORD dst_unused:UNUSED_PAD src0_sel:BYTE_3 src1_sel:DWORD
	v_lshlrev_b32_e32 v56, 3, v56
	v_cndmask_b32_e32 v97, 7, v97, vcc_lo
	v_and_b32_e32 v56, 0xf8, v56
	v_and_b32_e32 v57, 7, v97
	v_or_b32_e32 v20, v20, v97
	v_or3_b32 v96, v56, v96, v57
	v_cmp_ne_u32_e32 vcc_lo, 0, v20
	v_cndmask_b32_e32 v20, 0, v96, vcc_lo
.LBB0_123:                              ;   in Loop: Header=BB0_84 Depth=2
	s_or_b32 exec_lo, exec_lo, s24
.LBB0_124:                              ;   in Loop: Header=BB0_84 Depth=2
	s_or_b32 exec_lo, exec_lo, s23
	v_cmp_gt_i16_sdwa s23, v54, v40 src0_sel:BYTE_3 src1_sel:DWORD
	s_mov_b32 s11, 0
	s_and_saveexec_b32 s24, s23
	s_xor_b32 s23, exec_lo, s24
	s_cbranch_execnz .LBB0_194
; %bb.125:                              ;   in Loop: Header=BB0_84 Depth=2
	s_or_saveexec_b32 s23, s23
	v_mov_b32_e32 v96, 0x7f800001
	s_xor_b32 exec_lo, exec_lo, s23
	s_cbranch_execnz .LBB0_197
.LBB0_126:                              ;   in Loop: Header=BB0_84 Depth=2
	s_or_b32 exec_lo, exec_lo, s23
	s_and_saveexec_b32 s23, s11
	s_cbranch_execz .LBB0_128
.LBB0_127:                              ;   in Loop: Header=BB0_84 Depth=2
	v_bfe_u32 v96, v54, 24, 3
	v_bfe_u32 v57, v54, 27, 4
	v_ffbh_u32_e32 v97, v96
	v_cmp_eq_u32_e32 vcc_lo, 0, v57
	v_min_u32_e32 v97, 32, v97
	v_subrev_nc_u32_e32 v56, 28, v97
	v_sub_nc_u32_e32 v97, 29, v97
	v_lshlrev_b32_sdwa v56, v56, v54 dst_sel:DWORD dst_unused:UNUSED_PAD src0_sel:DWORD src1_sel:BYTE_3
	v_cndmask_b32_e32 v97, v57, v97, vcc_lo
	v_and_b32_e32 v54, 0x80000000, v54
	v_and_b32_e32 v56, 7, v56
	v_lshl_add_u32 v97, v97, 23, 0x3b800000
	v_cndmask_b32_e32 v96, v96, v56, vcc_lo
	v_lshlrev_b32_e32 v96, 20, v96
	v_or3_b32 v96, v54, v97, v96
.LBB0_128:                              ;   in Loop: Header=BB0_84 Depth=2
	s_or_b32 exec_lo, exec_lo, s23
	v_mul_f32_e32 v96, v0, v96
	v_and_b32_e32 v54, 0x7f800000, v96
	v_cmp_ne_u32_e32 vcc_lo, 0x7f800000, v54
	v_mov_b32_e32 v54, 0x8000
	s_and_saveexec_b32 s23, vcc_lo
	s_cbranch_execz .LBB0_136
; %bb.129:                              ;   in Loop: Header=BB0_84 Depth=2
	v_mov_b32_e32 v54, 0
	s_mov_b32 s24, exec_lo
	v_cmpx_ne_u32_e32 0, v96
	s_cbranch_execz .LBB0_135
; %bb.130:                              ;   in Loop: Header=BB0_84 Depth=2
	v_bfe_u32 v54, v96, 23, 8
	v_and_b32_e32 v97, 0x7fffff, v96
	v_sub_nc_u32_e32 v56, 0x78, v54
	v_cmp_gt_u32_e32 vcc_lo, 0x79, v54
	v_or_b32_e32 v57, 0x800000, v97
	v_cndmask_b32_e32 v56, 0, v56, vcc_lo
	v_cmp_eq_u32_e32 vcc_lo, 0, v54
	v_add_nc_u32_e32 v54, 0xffffff89, v54
	v_cndmask_b32_e64 v56, v56, 0x77, vcc_lo
	v_cndmask_b32_e32 v97, v57, v97, vcc_lo
	v_cndmask_b32_e64 v54, v54, 0xffffff8a, vcc_lo
	v_lshl_add_u32 v57, 0x100000, v56, -1
	v_lshrrev_b32_e32 v58, v56, v97
	v_lshlrev_b32_e64 v60, v56, 0x80000
	v_add_nc_u32_e32 v56, v56, v54
	v_and_b32_e32 v97, v57, v97
	v_bfe_u32 v59, v58, 20, 1
	v_cmp_eq_u32_e64 s11, v97, v60
	v_add_nc_u32_e32 v57, -1, v59
	v_cndmask_b32_e64 v97, 0, v57, s11
	v_lshrrev_b32_e32 v57, 23, v58
	s_mov_b32 s11, exec_lo
	v_add_nc_u32_e32 v97, v97, v58
	v_xor_b32_e32 v57, 1, v57
	v_and_b32_e32 v54, 0xfffff, v97
	v_add_nc_u32_e32 v97, v54, v58
                                        ; implicit-def: $vgpr54
	v_cmpx_ne_u32_e64 v56, v57
	s_xor_b32 s11, exec_lo, s11
; %bb.131:                              ;   in Loop: Header=BB0_84 Depth=2
	v_cmp_lt_u32_e32 vcc_lo, 0xffffff, v97
	v_sub_nc_u32_e32 v54, v56, v57
	v_cndmask_b32_e64 v56, 0, 1, vcc_lo
	v_add_co_ci_u32_e64 v54, null, 0, v54, vcc_lo
	v_lshrrev_b32_e32 v97, v56, v97
; %bb.132:                              ;   in Loop: Header=BB0_84 Depth=2
	s_andn2_saveexec_b32 s11, s11
; %bb.133:                              ;   in Loop: Header=BB0_84 Depth=2
	v_bfe_u32 v54, v97, 23, 1
; %bb.134:                              ;   in Loop: Header=BB0_84 Depth=2
	s_or_b32 exec_lo, exec_lo, s11
	v_lshrrev_b32_e32 v97, 20, v97
	v_min_i32_e32 v56, 15, v54
	v_cmp_gt_i32_e32 vcc_lo, 16, v54
	v_and_b32_sdwa v96, v96, v41 dst_sel:DWORD dst_unused:UNUSED_PAD src0_sel:BYTE_3 src1_sel:DWORD
	v_lshlrev_b32_e32 v56, 3, v56
	v_cndmask_b32_e32 v97, 7, v97, vcc_lo
	v_and_b32_e32 v56, 0xf8, v56
	v_and_b32_e32 v57, 7, v97
	v_or_b32_e32 v54, v54, v97
	v_or3_b32 v96, v96, v56, v57
	v_cmp_ne_u32_e32 vcc_lo, 0, v54
	v_lshlrev_b32_e32 v96, 8, v96
	v_cndmask_b32_e32 v54, 0, v96, vcc_lo
.LBB0_135:                              ;   in Loop: Header=BB0_84 Depth=2
	s_or_b32 exec_lo, exec_lo, s24
.LBB0_136:                              ;   in Loop: Header=BB0_84 Depth=2
	s_or_b32 exec_lo, exec_lo, s23
	v_alignbit_b32 v86, v86, v87, v85
	s_mov_b32 s11, 0
	v_cmp_gt_i16_sdwa s23, v86, v40 src0_sel:BYTE_0 src1_sel:DWORD
	s_and_saveexec_b32 s24, s23
	s_xor_b32 s23, exec_lo, s24
	s_cbranch_execnz .LBB0_198
; %bb.137:                              ;   in Loop: Header=BB0_84 Depth=2
	s_or_saveexec_b32 s23, s23
	v_mov_b32_e32 v87, 0x7f800001
	s_xor_b32 exec_lo, exec_lo, s23
	s_cbranch_execnz .LBB0_201
.LBB0_138:                              ;   in Loop: Header=BB0_84 Depth=2
	s_or_b32 exec_lo, exec_lo, s23
	s_and_saveexec_b32 s23, s11
	s_cbranch_execz .LBB0_140
.LBB0_139:                              ;   in Loop: Header=BB0_84 Depth=2
	v_and_b32_e32 v87, 7, v86
	v_bfe_u32 v56, v86, 3, 4
	v_lshlrev_b32_e32 v57, 24, v86
	v_ffbh_u32_e32 v96, v87
	v_cmp_eq_u32_e32 vcc_lo, 0, v56
	v_min_u32_e32 v96, 32, v96
	v_subrev_nc_u32_e32 v97, 28, v96
	v_sub_nc_u32_e32 v96, 29, v96
	v_lshlrev_b32_e32 v97, v97, v86
	v_cndmask_b32_e32 v96, v56, v96, vcc_lo
	v_and_b32_e32 v97, 7, v97
	v_lshl_add_u32 v96, v96, 23, 0x3b800000
	v_cndmask_b32_e32 v87, v87, v97, vcc_lo
	v_and_b32_e32 v97, 0x80000000, v57
	v_lshlrev_b32_e32 v87, 20, v87
	v_or3_b32 v87, v97, v96, v87
.LBB0_140:                              ;   in Loop: Header=BB0_84 Depth=2
	s_or_b32 exec_lo, exec_lo, s23
	v_mul_f32_e32 v96, v0, v87
	v_and_b32_e32 v87, 0x7f800000, v96
	v_cmp_ne_u32_e32 vcc_lo, 0x7f800000, v87
	v_mov_b32_e32 v87, 0x80
	s_and_saveexec_b32 s23, vcc_lo
	s_cbranch_execz .LBB0_148
; %bb.141:                              ;   in Loop: Header=BB0_84 Depth=2
	v_mov_b32_e32 v87, 0
	s_mov_b32 s24, exec_lo
	v_cmpx_ne_u32_e32 0, v96
	s_cbranch_execz .LBB0_147
; %bb.142:                              ;   in Loop: Header=BB0_84 Depth=2
	v_bfe_u32 v87, v96, 23, 8
	v_and_b32_e32 v97, 0x7fffff, v96
	v_sub_nc_u32_e32 v56, 0x78, v87
	v_cmp_gt_u32_e32 vcc_lo, 0x79, v87
	v_or_b32_e32 v57, 0x800000, v97
	v_cndmask_b32_e32 v56, 0, v56, vcc_lo
	v_cmp_eq_u32_e32 vcc_lo, 0, v87
	v_add_nc_u32_e32 v87, 0xffffff89, v87
	v_cndmask_b32_e64 v56, v56, 0x77, vcc_lo
	v_cndmask_b32_e32 v97, v57, v97, vcc_lo
	v_cndmask_b32_e64 v87, v87, 0xffffff8a, vcc_lo
	v_lshl_add_u32 v57, 0x100000, v56, -1
	v_lshrrev_b32_e32 v58, v56, v97
	v_lshlrev_b32_e64 v60, v56, 0x80000
	v_add_nc_u32_e32 v56, v56, v87
	v_and_b32_e32 v97, v57, v97
	v_bfe_u32 v59, v58, 20, 1
	v_cmp_eq_u32_e64 s11, v97, v60
	v_add_nc_u32_e32 v57, -1, v59
	v_cndmask_b32_e64 v97, 0, v57, s11
	v_lshrrev_b32_e32 v57, 23, v58
	s_mov_b32 s11, exec_lo
	v_add_nc_u32_e32 v97, v97, v58
	v_xor_b32_e32 v57, 1, v57
	v_and_b32_e32 v87, 0xfffff, v97
	v_add_nc_u32_e32 v97, v87, v58
                                        ; implicit-def: $vgpr87
	v_cmpx_ne_u32_e64 v56, v57
	s_xor_b32 s11, exec_lo, s11
; %bb.143:                              ;   in Loop: Header=BB0_84 Depth=2
	v_cmp_lt_u32_e32 vcc_lo, 0xffffff, v97
	v_sub_nc_u32_e32 v87, v56, v57
	v_cndmask_b32_e64 v56, 0, 1, vcc_lo
	v_add_co_ci_u32_e64 v87, null, 0, v87, vcc_lo
	v_lshrrev_b32_e32 v97, v56, v97
; %bb.144:                              ;   in Loop: Header=BB0_84 Depth=2
	s_andn2_saveexec_b32 s11, s11
; %bb.145:                              ;   in Loop: Header=BB0_84 Depth=2
	v_bfe_u32 v87, v97, 23, 1
; %bb.146:                              ;   in Loop: Header=BB0_84 Depth=2
	s_or_b32 exec_lo, exec_lo, s11
	v_lshrrev_b32_e32 v97, 20, v97
	v_min_i32_e32 v56, 15, v87
	v_cmp_gt_i32_e32 vcc_lo, 16, v87
	v_and_b32_sdwa v96, v96, v41 dst_sel:DWORD dst_unused:UNUSED_PAD src0_sel:BYTE_3 src1_sel:DWORD
	v_lshlrev_b32_e32 v56, 3, v56
	v_cndmask_b32_e32 v97, 7, v97, vcc_lo
	v_and_b32_e32 v56, 0xf8, v56
	v_and_b32_e32 v57, 7, v97
	v_or_b32_e32 v87, v87, v97
	v_or3_b32 v96, v56, v96, v57
	v_cmp_ne_u32_e32 vcc_lo, 0, v87
	v_cndmask_b32_e32 v87, 0, v96, vcc_lo
.LBB0_147:                              ;   in Loop: Header=BB0_84 Depth=2
	s_or_b32 exec_lo, exec_lo, s24
.LBB0_148:                              ;   in Loop: Header=BB0_84 Depth=2
	s_or_b32 exec_lo, exec_lo, s23
	v_cmp_gt_i16_sdwa s23, v86, v40 src0_sel:BYTE_1 src1_sel:DWORD
	s_mov_b32 s11, 0
	s_and_saveexec_b32 s24, s23
	s_xor_b32 s23, exec_lo, s24
	s_cbranch_execnz .LBB0_202
; %bb.149:                              ;   in Loop: Header=BB0_84 Depth=2
	s_or_saveexec_b32 s23, s23
	v_mov_b32_e32 v96, 0x7f800001
	s_xor_b32 exec_lo, exec_lo, s23
	s_cbranch_execnz .LBB0_205
.LBB0_150:                              ;   in Loop: Header=BB0_84 Depth=2
	s_or_b32 exec_lo, exec_lo, s23
	s_and_saveexec_b32 s23, s11
	s_cbranch_execz .LBB0_152
.LBB0_151:                              ;   in Loop: Header=BB0_84 Depth=2
	v_and_b32_sdwa v96, v42, v86 dst_sel:DWORD dst_unused:UNUSED_PAD src0_sel:DWORD src1_sel:BYTE_1
	v_and_b32_e32 v97, 7, v96
	v_bfe_u32 v58, v96, 3, 4
	v_ffbh_u32_e32 v56, v97
	v_cmp_eq_u32_e32 vcc_lo, 0, v58
	v_min_u32_e32 v56, 32, v56
	v_subrev_nc_u32_e32 v57, 28, v56
	v_sub_nc_u32_e32 v56, 29, v56
	v_lshlrev_b32_e32 v96, v57, v96
	v_lshlrev_b32_sdwa v57, v43, v86 dst_sel:DWORD dst_unused:UNUSED_PAD src0_sel:DWORD src1_sel:BYTE_1
	v_cndmask_b32_e32 v56, v58, v56, vcc_lo
	v_and_b32_e32 v96, 7, v96
	v_lshl_add_u32 v56, v56, 23, 0x3b800000
	v_cndmask_b32_e32 v96, v97, v96, vcc_lo
	v_and_b32_e32 v97, 0x80000000, v57
	v_lshlrev_b32_e32 v96, 20, v96
	v_or3_b32 v96, v97, v56, v96
.LBB0_152:                              ;   in Loop: Header=BB0_84 Depth=2
	s_or_b32 exec_lo, exec_lo, s23
	v_mul_f32_e32 v97, v0, v96
	v_and_b32_e32 v96, 0x7f800000, v97
	v_cmp_ne_u32_e32 vcc_lo, 0x7f800000, v96
	v_mov_b32_e32 v96, 0x8000
	s_and_saveexec_b32 s23, vcc_lo
	s_cbranch_execz .LBB0_160
; %bb.153:                              ;   in Loop: Header=BB0_84 Depth=2
	v_mov_b32_e32 v96, 0
	s_mov_b32 s24, exec_lo
	v_cmpx_ne_u32_e32 0, v97
	s_cbranch_execz .LBB0_159
; %bb.154:                              ;   in Loop: Header=BB0_84 Depth=2
	v_bfe_u32 v96, v97, 23, 8
	v_and_b32_e32 v56, 0x7fffff, v97
	v_sub_nc_u32_e32 v57, 0x78, v96
	v_cmp_gt_u32_e32 vcc_lo, 0x79, v96
	v_or_b32_e32 v58, 0x800000, v56
	v_cndmask_b32_e32 v57, 0, v57, vcc_lo
	v_cmp_eq_u32_e32 vcc_lo, 0, v96
	v_add_nc_u32_e32 v96, 0xffffff89, v96
	v_cndmask_b32_e64 v57, v57, 0x77, vcc_lo
	v_cndmask_b32_e32 v56, v58, v56, vcc_lo
	v_cndmask_b32_e64 v96, v96, 0xffffff8a, vcc_lo
	v_lshl_add_u32 v58, 0x100000, v57, -1
	v_lshrrev_b32_e32 v59, v57, v56
	v_lshlrev_b32_e64 v61, v57, 0x80000
	v_add_nc_u32_e32 v57, v57, v96
	v_and_b32_e32 v56, v58, v56
	v_bfe_u32 v60, v59, 20, 1
	v_cmp_eq_u32_e64 s11, v56, v61
	v_add_nc_u32_e32 v58, -1, v60
	v_cndmask_b32_e64 v56, 0, v58, s11
	v_lshrrev_b32_e32 v58, 23, v59
	s_mov_b32 s11, exec_lo
	v_add_nc_u32_e32 v56, v56, v59
	v_xor_b32_e32 v58, 1, v58
	v_and_b32_e32 v96, 0xfffff, v56
	v_add_nc_u32_e32 v56, v96, v59
                                        ; implicit-def: $vgpr96
	v_cmpx_ne_u32_e64 v57, v58
	s_xor_b32 s11, exec_lo, s11
; %bb.155:                              ;   in Loop: Header=BB0_84 Depth=2
	v_cmp_lt_u32_e32 vcc_lo, 0xffffff, v56
	v_sub_nc_u32_e32 v96, v57, v58
	v_cndmask_b32_e64 v57, 0, 1, vcc_lo
	v_add_co_ci_u32_e64 v96, null, 0, v96, vcc_lo
	v_lshrrev_b32_e32 v56, v57, v56
; %bb.156:                              ;   in Loop: Header=BB0_84 Depth=2
	s_andn2_saveexec_b32 s11, s11
; %bb.157:                              ;   in Loop: Header=BB0_84 Depth=2
	v_bfe_u32 v96, v56, 23, 1
; %bb.158:                              ;   in Loop: Header=BB0_84 Depth=2
	s_or_b32 exec_lo, exec_lo, s11
	v_lshrrev_b32_e32 v56, 20, v56
	v_min_i32_e32 v57, 15, v96
	v_cmp_gt_i32_e32 vcc_lo, 16, v96
	v_and_b32_sdwa v97, v97, v41 dst_sel:DWORD dst_unused:UNUSED_PAD src0_sel:BYTE_3 src1_sel:DWORD
	v_lshlrev_b32_e32 v57, 3, v57
	v_cndmask_b32_e32 v56, 7, v56, vcc_lo
	v_and_b32_e32 v57, 0xf8, v57
	v_and_b32_e32 v58, 7, v56
	v_or_b32_e32 v96, v96, v56
	v_or3_b32 v97, v97, v57, v58
	v_cmp_ne_u32_e32 vcc_lo, 0, v96
	v_lshlrev_b32_e32 v97, 8, v97
	v_cndmask_b32_e32 v96, 0, v97, vcc_lo
.LBB0_159:                              ;   in Loop: Header=BB0_84 Depth=2
	s_or_b32 exec_lo, exec_lo, s24
.LBB0_160:                              ;   in Loop: Header=BB0_84 Depth=2
	s_or_b32 exec_lo, exec_lo, s23
	v_and_b32_sdwa v56, v86, v44 dst_sel:DWORD dst_unused:UNUSED_PAD src0_sel:WORD_1 src1_sel:DWORD
	s_mov_b32 s11, 0
	s_mov_b32 s23, exec_lo
	v_cmpx_lt_i16_e32 0x7f, v56
	s_xor_b32 s23, exec_lo, s23
	s_cbranch_execnz .LBB0_206
; %bb.161:                              ;   in Loop: Header=BB0_84 Depth=2
	s_or_saveexec_b32 s23, s23
	v_mov_b32_e32 v97, 0x7f800001
	s_xor_b32 exec_lo, exec_lo, s23
	s_cbranch_execnz .LBB0_209
.LBB0_162:                              ;   in Loop: Header=BB0_84 Depth=2
	s_or_b32 exec_lo, exec_lo, s23
	s_and_saveexec_b32 s23, s11
	s_cbranch_execz .LBB0_164
.LBB0_163:                              ;   in Loop: Header=BB0_84 Depth=2
	v_bfe_u32 v97, v86, 16, 3
	v_bfe_u32 v58, v86, 19, 4
	v_lshlrev_b32_e32 v59, 8, v86
	v_ffbh_u32_e32 v56, v97
	v_cmp_eq_u32_e32 vcc_lo, 0, v58
	v_min_u32_e32 v56, 32, v56
	v_subrev_nc_u32_e32 v57, 28, v56
	v_sub_nc_u32_e32 v56, 29, v56
	v_lshlrev_b32_sdwa v57, v57, v86 dst_sel:DWORD dst_unused:UNUSED_PAD src0_sel:DWORD src1_sel:WORD_1
	v_cndmask_b32_e32 v56, v58, v56, vcc_lo
	v_and_b32_e32 v57, 7, v57
	v_lshl_add_u32 v56, v56, 23, 0x3b800000
	v_cndmask_b32_e32 v97, v97, v57, vcc_lo
	v_and_b32_e32 v57, 0x80000000, v59
	v_lshlrev_b32_e32 v97, 20, v97
	v_or3_b32 v97, v57, v56, v97
.LBB0_164:                              ;   in Loop: Header=BB0_84 Depth=2
	s_or_b32 exec_lo, exec_lo, s23
	v_mul_f32_e32 v56, v0, v97
	v_and_b32_e32 v97, 0x7f800000, v56
	v_cmp_ne_u32_e32 vcc_lo, 0x7f800000, v97
	v_mov_b32_e32 v97, 0x80
	s_and_saveexec_b32 s23, vcc_lo
	s_cbranch_execz .LBB0_172
; %bb.165:                              ;   in Loop: Header=BB0_84 Depth=2
	v_mov_b32_e32 v97, 0
	s_mov_b32 s24, exec_lo
	v_cmpx_ne_u32_e32 0, v56
	s_cbranch_execz .LBB0_171
; %bb.166:                              ;   in Loop: Header=BB0_84 Depth=2
	v_bfe_u32 v97, v56, 23, 8
	v_and_b32_e32 v57, 0x7fffff, v56
	v_sub_nc_u32_e32 v58, 0x78, v97
	v_cmp_gt_u32_e32 vcc_lo, 0x79, v97
	v_or_b32_e32 v59, 0x800000, v57
	v_cndmask_b32_e32 v58, 0, v58, vcc_lo
	v_cmp_eq_u32_e32 vcc_lo, 0, v97
	v_add_nc_u32_e32 v97, 0xffffff89, v97
	v_cndmask_b32_e64 v58, v58, 0x77, vcc_lo
	v_cndmask_b32_e32 v57, v59, v57, vcc_lo
	v_cndmask_b32_e64 v97, v97, 0xffffff8a, vcc_lo
	v_lshl_add_u32 v59, 0x100000, v58, -1
	v_lshrrev_b32_e32 v60, v58, v57
	v_lshlrev_b32_e64 v62, v58, 0x80000
	v_add_nc_u32_e32 v58, v58, v97
	v_and_b32_e32 v57, v59, v57
	v_bfe_u32 v61, v60, 20, 1
	v_cmp_eq_u32_e64 s11, v57, v62
	v_add_nc_u32_e32 v59, -1, v61
	v_cndmask_b32_e64 v57, 0, v59, s11
	v_lshrrev_b32_e32 v59, 23, v60
	s_mov_b32 s11, exec_lo
	v_add_nc_u32_e32 v57, v57, v60
	v_xor_b32_e32 v59, 1, v59
	v_and_b32_e32 v97, 0xfffff, v57
	v_add_nc_u32_e32 v57, v97, v60
                                        ; implicit-def: $vgpr97
	v_cmpx_ne_u32_e64 v58, v59
	s_xor_b32 s11, exec_lo, s11
; %bb.167:                              ;   in Loop: Header=BB0_84 Depth=2
	v_cmp_lt_u32_e32 vcc_lo, 0xffffff, v57
	v_sub_nc_u32_e32 v97, v58, v59
	v_cndmask_b32_e64 v58, 0, 1, vcc_lo
	v_add_co_ci_u32_e64 v97, null, 0, v97, vcc_lo
	v_lshrrev_b32_e32 v57, v58, v57
; %bb.168:                              ;   in Loop: Header=BB0_84 Depth=2
	s_andn2_saveexec_b32 s11, s11
; %bb.169:                              ;   in Loop: Header=BB0_84 Depth=2
	v_bfe_u32 v97, v57, 23, 1
; %bb.170:                              ;   in Loop: Header=BB0_84 Depth=2
	s_or_b32 exec_lo, exec_lo, s11
	v_lshrrev_b32_e32 v57, 20, v57
	v_min_i32_e32 v58, 15, v97
	v_cmp_gt_i32_e32 vcc_lo, 16, v97
	v_and_b32_sdwa v56, v56, v41 dst_sel:DWORD dst_unused:UNUSED_PAD src0_sel:BYTE_3 src1_sel:DWORD
	v_lshlrev_b32_e32 v58, 3, v58
	v_cndmask_b32_e32 v57, 7, v57, vcc_lo
	v_and_b32_e32 v58, 0xf8, v58
	v_and_b32_e32 v59, 7, v57
	v_or_b32_e32 v97, v97, v57
	v_or3_b32 v56, v58, v56, v59
	v_cmp_ne_u32_e32 vcc_lo, 0, v97
	v_cndmask_b32_e32 v97, 0, v56, vcc_lo
.LBB0_171:                              ;   in Loop: Header=BB0_84 Depth=2
	s_or_b32 exec_lo, exec_lo, s24
.LBB0_172:                              ;   in Loop: Header=BB0_84 Depth=2
	s_or_b32 exec_lo, exec_lo, s23
	v_cmp_gt_i16_sdwa s23, v86, v40 src0_sel:BYTE_3 src1_sel:DWORD
	s_mov_b32 s11, 0
	s_and_saveexec_b32 s24, s23
	s_xor_b32 s23, exec_lo, s24
	s_cbranch_execnz .LBB0_210
; %bb.173:                              ;   in Loop: Header=BB0_84 Depth=2
	s_or_saveexec_b32 s23, s23
	v_mov_b32_e32 v56, 0x7f800001
	s_xor_b32 exec_lo, exec_lo, s23
	s_cbranch_execnz .LBB0_213
.LBB0_174:                              ;   in Loop: Header=BB0_84 Depth=2
	s_or_b32 exec_lo, exec_lo, s23
	s_and_saveexec_b32 s23, s11
	s_cbranch_execz .LBB0_176
.LBB0_175:                              ;   in Loop: Header=BB0_84 Depth=2
	v_bfe_u32 v56, v86, 24, 3
	v_bfe_u32 v59, v86, 27, 4
	v_ffbh_u32_e32 v57, v56
	v_cmp_eq_u32_e32 vcc_lo, 0, v59
	v_min_u32_e32 v57, 32, v57
	v_subrev_nc_u32_e32 v58, 28, v57
	v_sub_nc_u32_e32 v57, 29, v57
	v_lshlrev_b32_sdwa v58, v58, v86 dst_sel:DWORD dst_unused:UNUSED_PAD src0_sel:DWORD src1_sel:BYTE_3
	v_cndmask_b32_e32 v57, v59, v57, vcc_lo
	v_and_b32_e32 v86, 0x80000000, v86
	v_and_b32_e32 v58, 7, v58
	v_lshl_add_u32 v57, v57, 23, 0x3b800000
	v_cndmask_b32_e32 v56, v56, v58, vcc_lo
	v_lshlrev_b32_e32 v56, 20, v56
	v_or3_b32 v56, v86, v57, v56
.LBB0_176:                              ;   in Loop: Header=BB0_84 Depth=2
	s_or_b32 exec_lo, exec_lo, s23
	v_mul_f32_e32 v86, v0, v56
	v_and_b32_e32 v56, 0x7f800000, v86
	v_cmp_ne_u32_e32 vcc_lo, 0x7f800000, v56
	v_mov_b32_e32 v56, 0x8000
	s_and_saveexec_b32 s23, vcc_lo
	s_cbranch_execz .LBB0_83
; %bb.177:                              ;   in Loop: Header=BB0_84 Depth=2
	v_mov_b32_e32 v56, 0
	s_mov_b32 s24, exec_lo
	v_cmpx_ne_u32_e32 0, v86
	s_cbranch_execz .LBB0_82
; %bb.178:                              ;   in Loop: Header=BB0_84 Depth=2
	v_bfe_u32 v56, v86, 23, 8
	v_and_b32_e32 v57, 0x7fffff, v86
	v_sub_nc_u32_e32 v58, 0x78, v56
	v_cmp_gt_u32_e32 vcc_lo, 0x79, v56
	v_or_b32_e32 v59, 0x800000, v57
	v_cndmask_b32_e32 v58, 0, v58, vcc_lo
	v_cmp_eq_u32_e32 vcc_lo, 0, v56
	v_add_nc_u32_e32 v56, 0xffffff89, v56
	v_cndmask_b32_e64 v58, v58, 0x77, vcc_lo
	v_cndmask_b32_e32 v57, v59, v57, vcc_lo
	v_cndmask_b32_e64 v56, v56, 0xffffff8a, vcc_lo
	v_lshl_add_u32 v59, 0x100000, v58, -1
	v_lshrrev_b32_e32 v60, v58, v57
	v_lshlrev_b32_e64 v62, v58, 0x80000
	v_add_nc_u32_e32 v58, v58, v56
	v_and_b32_e32 v57, v59, v57
	v_bfe_u32 v61, v60, 20, 1
	v_cmp_eq_u32_e64 s11, v57, v62
	v_add_nc_u32_e32 v59, -1, v61
	v_cndmask_b32_e64 v57, 0, v59, s11
	v_lshrrev_b32_e32 v59, 23, v60
	s_mov_b32 s11, exec_lo
	v_add_nc_u32_e32 v57, v57, v60
	v_xor_b32_e32 v59, 1, v59
	v_and_b32_e32 v56, 0xfffff, v57
	v_add_nc_u32_e32 v57, v56, v60
                                        ; implicit-def: $vgpr56
	v_cmpx_ne_u32_e64 v58, v59
	s_xor_b32 s11, exec_lo, s11
; %bb.179:                              ;   in Loop: Header=BB0_84 Depth=2
	v_cmp_lt_u32_e32 vcc_lo, 0xffffff, v57
	v_sub_nc_u32_e32 v56, v58, v59
	v_cndmask_b32_e64 v58, 0, 1, vcc_lo
	v_add_co_ci_u32_e64 v56, null, 0, v56, vcc_lo
	v_lshrrev_b32_e32 v57, v58, v57
; %bb.180:                              ;   in Loop: Header=BB0_84 Depth=2
	s_andn2_saveexec_b32 s11, s11
	s_cbranch_execz .LBB0_81
; %bb.181:                              ;   in Loop: Header=BB0_84 Depth=2
	v_bfe_u32 v56, v57, 23, 1
	s_branch .LBB0_81
.LBB0_182:                              ;   in Loop: Header=BB0_84 Depth=2
	v_cmp_eq_u16_sdwa s25, v54, v41 src0_sel:BYTE_0 src1_sel:DWORD
	s_mov_b32 s11, -1
	s_and_saveexec_b32 s24, s25
; %bb.183:                              ;   in Loop: Header=BB0_84 Depth=2
	s_xor_b32 s11, exec_lo, -1
; %bb.184:                              ;   in Loop: Header=BB0_84 Depth=2
	s_or_b32 exec_lo, exec_lo, s24
	s_and_b32 s11, s11, exec_lo
	s_or_saveexec_b32 s23, s23
	v_mov_b32_e32 v17, 0x7f800001
	s_xor_b32 exec_lo, exec_lo, s23
	s_cbranch_execz .LBB0_90
.LBB0_185:                              ;   in Loop: Header=BB0_84 Depth=2
	v_cmp_ne_u16_sdwa s24, v54, v55 src0_sel:BYTE_0 src1_sel:DWORD
	v_mov_b32_e32 v17, 0
	s_andn2_b32 s11, s11, exec_lo
	s_and_b32 s24, s24, exec_lo
	s_or_b32 s11, s11, s24
	s_or_b32 exec_lo, exec_lo, s23
	s_and_saveexec_b32 s23, s11
	s_cbranch_execnz .LBB0_91
	s_branch .LBB0_92
.LBB0_186:                              ;   in Loop: Header=BB0_84 Depth=2
	v_cmp_eq_u16_sdwa s25, v54, v41 src0_sel:BYTE_1 src1_sel:DWORD
	s_mov_b32 s11, -1
	s_and_saveexec_b32 s24, s25
; %bb.187:                              ;   in Loop: Header=BB0_84 Depth=2
	s_xor_b32 s11, exec_lo, -1
; %bb.188:                              ;   in Loop: Header=BB0_84 Depth=2
	s_or_b32 exec_lo, exec_lo, s24
	s_and_b32 s11, s11, exec_lo
	s_or_saveexec_b32 s23, s23
	v_mov_b32_e32 v19, 0x7f800001
	s_xor_b32 exec_lo, exec_lo, s23
	s_cbranch_execz .LBB0_102
.LBB0_189:                              ;   in Loop: Header=BB0_84 Depth=2
	v_cmp_ne_u16_sdwa s24, v54, v55 src0_sel:BYTE_1 src1_sel:DWORD
	v_mov_b32_e32 v19, 0
	s_andn2_b32 s11, s11, exec_lo
	s_and_b32 s24, s24, exec_lo
	s_or_b32 s11, s11, s24
	s_or_b32 exec_lo, exec_lo, s23
	s_and_saveexec_b32 s23, s11
	s_cbranch_execnz .LBB0_103
	s_branch .LBB0_104
.LBB0_190:                              ;   in Loop: Header=BB0_84 Depth=2
	s_mov_b32 s11, -1
	s_mov_b32 s24, exec_lo
	v_cmpx_eq_u16_e32 0x80, v96
; %bb.191:                              ;   in Loop: Header=BB0_84 Depth=2
	s_xor_b32 s11, exec_lo, -1
; %bb.192:                              ;   in Loop: Header=BB0_84 Depth=2
	s_or_b32 exec_lo, exec_lo, s24
	s_and_b32 s11, s11, exec_lo
                                        ; implicit-def: $vgpr96
	s_or_saveexec_b32 s23, s23
	v_mov_b32_e32 v20, 0x7f800001
	s_xor_b32 exec_lo, exec_lo, s23
	s_cbranch_execz .LBB0_114
.LBB0_193:                              ;   in Loop: Header=BB0_84 Depth=2
	v_cmp_ne_u16_e32 vcc_lo, 0, v96
	v_mov_b32_e32 v20, 0
	s_andn2_b32 s11, s11, exec_lo
	s_and_b32 s24, vcc_lo, exec_lo
	s_or_b32 s11, s11, s24
	s_or_b32 exec_lo, exec_lo, s23
	s_and_saveexec_b32 s23, s11
	s_cbranch_execnz .LBB0_115
	s_branch .LBB0_116
.LBB0_194:                              ;   in Loop: Header=BB0_84 Depth=2
	v_cmp_eq_u16_sdwa s25, v54, v41 src0_sel:BYTE_3 src1_sel:DWORD
	s_mov_b32 s11, -1
	s_and_saveexec_b32 s24, s25
; %bb.195:                              ;   in Loop: Header=BB0_84 Depth=2
	s_xor_b32 s11, exec_lo, -1
; %bb.196:                              ;   in Loop: Header=BB0_84 Depth=2
	s_or_b32 exec_lo, exec_lo, s24
	s_and_b32 s11, s11, exec_lo
	s_or_saveexec_b32 s23, s23
	v_mov_b32_e32 v96, 0x7f800001
	s_xor_b32 exec_lo, exec_lo, s23
	s_cbranch_execz .LBB0_126
.LBB0_197:                              ;   in Loop: Header=BB0_84 Depth=2
	v_cmp_ne_u16_sdwa s24, v54, v55 src0_sel:BYTE_3 src1_sel:DWORD
	v_mov_b32_e32 v96, 0
	s_andn2_b32 s11, s11, exec_lo
	s_and_b32 s24, s24, exec_lo
	s_or_b32 s11, s11, s24
	s_or_b32 exec_lo, exec_lo, s23
	s_and_saveexec_b32 s23, s11
	s_cbranch_execnz .LBB0_127
	s_branch .LBB0_128
.LBB0_198:                              ;   in Loop: Header=BB0_84 Depth=2
	v_cmp_eq_u16_sdwa s25, v86, v41 src0_sel:BYTE_0 src1_sel:DWORD
	s_mov_b32 s11, -1
	s_and_saveexec_b32 s24, s25
; %bb.199:                              ;   in Loop: Header=BB0_84 Depth=2
	s_xor_b32 s11, exec_lo, -1
; %bb.200:                              ;   in Loop: Header=BB0_84 Depth=2
	s_or_b32 exec_lo, exec_lo, s24
	s_and_b32 s11, s11, exec_lo
	s_or_saveexec_b32 s23, s23
	v_mov_b32_e32 v87, 0x7f800001
	s_xor_b32 exec_lo, exec_lo, s23
	s_cbranch_execz .LBB0_138
.LBB0_201:                              ;   in Loop: Header=BB0_84 Depth=2
	v_cmp_ne_u16_sdwa s24, v86, v55 src0_sel:BYTE_0 src1_sel:DWORD
	v_mov_b32_e32 v87, 0
	s_andn2_b32 s11, s11, exec_lo
	s_and_b32 s24, s24, exec_lo
	s_or_b32 s11, s11, s24
	s_or_b32 exec_lo, exec_lo, s23
	s_and_saveexec_b32 s23, s11
	s_cbranch_execnz .LBB0_139
	s_branch .LBB0_140
.LBB0_202:                              ;   in Loop: Header=BB0_84 Depth=2
	v_cmp_eq_u16_sdwa s25, v86, v41 src0_sel:BYTE_1 src1_sel:DWORD
	s_mov_b32 s11, -1
	s_and_saveexec_b32 s24, s25
; %bb.203:                              ;   in Loop: Header=BB0_84 Depth=2
	s_xor_b32 s11, exec_lo, -1
; %bb.204:                              ;   in Loop: Header=BB0_84 Depth=2
	s_or_b32 exec_lo, exec_lo, s24
	s_and_b32 s11, s11, exec_lo
	s_or_saveexec_b32 s23, s23
	v_mov_b32_e32 v96, 0x7f800001
	s_xor_b32 exec_lo, exec_lo, s23
	s_cbranch_execz .LBB0_150
.LBB0_205:                              ;   in Loop: Header=BB0_84 Depth=2
	v_cmp_ne_u16_sdwa s24, v86, v55 src0_sel:BYTE_1 src1_sel:DWORD
	v_mov_b32_e32 v96, 0
	s_andn2_b32 s11, s11, exec_lo
	s_and_b32 s24, s24, exec_lo
	s_or_b32 s11, s11, s24
	s_or_b32 exec_lo, exec_lo, s23
	s_and_saveexec_b32 s23, s11
	s_cbranch_execnz .LBB0_151
	s_branch .LBB0_152
.LBB0_206:                              ;   in Loop: Header=BB0_84 Depth=2
	s_mov_b32 s11, -1
	s_mov_b32 s24, exec_lo
	v_cmpx_eq_u16_e32 0x80, v56
; %bb.207:                              ;   in Loop: Header=BB0_84 Depth=2
	s_xor_b32 s11, exec_lo, -1
; %bb.208:                              ;   in Loop: Header=BB0_84 Depth=2
	s_or_b32 exec_lo, exec_lo, s24
	s_and_b32 s11, s11, exec_lo
                                        ; implicit-def: $vgpr56
	s_or_saveexec_b32 s23, s23
	v_mov_b32_e32 v97, 0x7f800001
	s_xor_b32 exec_lo, exec_lo, s23
	s_cbranch_execz .LBB0_162
.LBB0_209:                              ;   in Loop: Header=BB0_84 Depth=2
	v_cmp_ne_u16_e32 vcc_lo, 0, v56
	v_mov_b32_e32 v97, 0
	s_andn2_b32 s11, s11, exec_lo
	s_and_b32 s24, vcc_lo, exec_lo
	s_or_b32 s11, s11, s24
	s_or_b32 exec_lo, exec_lo, s23
	s_and_saveexec_b32 s23, s11
	s_cbranch_execnz .LBB0_163
	s_branch .LBB0_164
.LBB0_210:                              ;   in Loop: Header=BB0_84 Depth=2
	v_cmp_eq_u16_sdwa s25, v86, v41 src0_sel:BYTE_3 src1_sel:DWORD
	s_mov_b32 s11, -1
	s_and_saveexec_b32 s24, s25
; %bb.211:                              ;   in Loop: Header=BB0_84 Depth=2
	s_xor_b32 s11, exec_lo, -1
; %bb.212:                              ;   in Loop: Header=BB0_84 Depth=2
	s_or_b32 exec_lo, exec_lo, s24
	s_and_b32 s11, s11, exec_lo
	s_or_saveexec_b32 s23, s23
	v_mov_b32_e32 v56, 0x7f800001
	s_xor_b32 exec_lo, exec_lo, s23
	s_cbranch_execz .LBB0_174
.LBB0_213:                              ;   in Loop: Header=BB0_84 Depth=2
	v_cmp_ne_u16_sdwa s24, v86, v55 src0_sel:BYTE_3 src1_sel:DWORD
	v_mov_b32_e32 v56, 0
	s_andn2_b32 s11, s11, exec_lo
	s_and_b32 s24, s24, exec_lo
	s_or_b32 s11, s11, s24
	s_or_b32 exec_lo, exec_lo, s23
	s_and_saveexec_b32 s23, s11
	s_cbranch_execnz .LBB0_175
	s_branch .LBB0_176
.LBB0_214:                              ;   in Loop: Header=BB0_44 Depth=1
	s_or_b32 exec_lo, exec_lo, s22
.LBB0_215:                              ;   in Loop: Header=BB0_44 Depth=1
	s_or_b32 exec_lo, exec_lo, s12
	v_and_b32_e32 v54, 0x7ffffff8, v21
	v_cmp_gt_i32_e64 s11, s18, v70
	v_cmp_eq_u64_e32 vcc_lo, 0x7ffffff8, v[54:55]
	s_and_b32 s11, vcc_lo, s11
	s_and_saveexec_b32 s12, s11
	s_cbranch_execz .LBB0_218
; %bb.216:                              ;   in Loop: Header=BB0_44 Depth=1
	s_waitcnt vmcnt(0) lgkmcnt(0)
	v_mul_lo_u32 v19, v71, s18
	v_ashrrev_i32_e32 v71, 31, v70
	v_mov_b32_e32 v17, v55
	s_mov_b32 s22, 0
	v_lshlrev_b64 v[80:81], 4, v[70:71]
	v_ashrrev_i32_e32 v20, 31, v19
	v_lshlrev_b64 v[19:20], 4, v[19:20]
	v_add_co_u32 v19, vcc_lo, v80, v19
	v_add_co_ci_u32_e64 v20, null, v81, v20, vcc_lo
	v_add_co_u32 v80, vcc_lo, v36, v19
	v_add_co_ci_u32_e64 v81, null, v37, v20, vcc_lo
.LBB0_217:                              ;   Parent Loop BB0_44 Depth=1
                                        ; =>  This Inner Loop Header: Depth=2
	v_mov_b32_e32 v19, v17
	v_add_nc_u32_e32 v70, v70, v1
	v_mov_b32_e32 v20, v18
	v_cmp_le_i32_e32 vcc_lo, s18, v70
	global_store_dwordx4 v[80:81], v[17:20], off
	v_add_co_u32 v80, s11, v80, v9
	v_add_co_ci_u32_e64 v81, null, v81, v10, s11
	s_or_b32 s22, vcc_lo, s22
	s_andn2_b32 exec_lo, exec_lo, s22
	s_cbranch_execnz .LBB0_217
.LBB0_218:                              ;   in Loop: Header=BB0_44 Depth=1
	s_or_b32 exec_lo, exec_lo, s12
	v_add_co_u32 v56, vcc_lo, v68, v25
	v_add_co_ci_u32_e64 v57, null, v69, v26, vcc_lo
	v_add_co_u32 v70, vcc_lo, v21, 1
	v_add_co_ci_u32_e64 v71, null, 0, v22, vcc_lo
	s_andn2_b32 vcc_lo, exec_lo, s21
	s_cbranch_vccnz .LBB0_620
; %bb.219:                              ;   in Loop: Header=BB0_44 Depth=1
	v_add_co_u32 v80, vcc_lo, v112, v56
	v_add_co_ci_u32_e64 v81, null, v113, v57, vcc_lo
	v_add_nc_u16 v58, v21, 1
	s_mov_b32 s22, 2
	s_branch .LBB0_221
.LBB0_220:                              ;   in Loop: Header=BB0_221 Depth=2
	s_or_b32 exec_lo, exec_lo, s12
	v_add_co_u32 v34, vcc_lo, v34, 1
	v_add_co_ci_u32_e64 v35, null, 0, v35, vcc_lo
	v_add_co_u32 v70, vcc_lo, v70, 1
	v_add_co_ci_u32_e64 v71, null, 0, v71, vcc_lo
	v_add_nc_u16 v58, v58, 1
	s_add_i32 s22, s22, 1
	s_cmp_eq_u32 s22, s14
	s_cbranch_scc1 .LBB0_620
.LBB0_221:                              ;   Parent Loop BB0_44 Depth=1
                                        ; =>  This Loop Header: Depth=2
                                        ;       Child Loop BB0_226 Depth 3
                                        ;       Child Loop BB0_245 Depth 3
                                        ;       Child Loop BB0_267 Depth 3
                                        ;         Child Loop BB0_275 Depth 4
                                        ;       Child Loop BB0_609 Depth 3
                                        ;       Child Loop BB0_262 Depth 3
	s_sub_i32 s12, s14, s22
	s_lshl_b64 s[24:25], s[12:13], 2
	v_add_co_u32 v17, vcc_lo, v23, s24
	v_add_co_ci_u32_e64 v18, null, s25, v24, vcc_lo
	s_waitcnt vmcnt(0) lgkmcnt(0)
	flat_load_dword v19, v[17:18]
	s_and_saveexec_b32 s12, s5
	s_cbranch_execz .LBB0_237
; %bb.222:                              ;   in Loop: Header=BB0_221 Depth=2
	v_add_co_u32 v17, vcc_lo, v15, 1
	v_add_co_ci_u32_e64 v18, null, 0, v16, vcc_lo
	v_add_co_u32 v20, vcc_lo, v52, 8
	v_add_co_ci_u32_e64 v21, null, 0, v53, vcc_lo
	s_mov_b32 s23, exec_lo
	v_cmpx_lt_u64_e64 v[20:21], v[17:18]
	s_cbranch_execz .LBB0_234
; %bb.223:                              ;   in Loop: Header=BB0_221 Depth=2
	s_mov_b32 s24, 0
	s_mov_b32 s28, 0
	v_cmp_eq_u32_e32 vcc_lo, 0, v45
                                        ; implicit-def: $sgpr25
                                        ; implicit-def: $sgpr26
                                        ; implicit-def: $sgpr27
	s_branch .LBB0_226
.LBB0_224:                              ;   in Loop: Header=BB0_226 Depth=3
	s_or_b32 exec_lo, exec_lo, s43
	s_andn2_b32 s11, s27, exec_lo
	s_and_b32 s27, s41, exec_lo
	s_andn2_b32 s26, s26, exec_lo
	s_and_b32 s40, s40, exec_lo
	s_or_b32 s27, s11, s27
	s_or_b32 s26, s26, s40
.LBB0_225:                              ;   in Loop: Header=BB0_226 Depth=3
	s_or_b32 exec_lo, exec_lo, s29
	s_and_b32 s11, exec_lo, s26
	s_or_b32 s24, s11, s24
	s_andn2_b32 s11, s25, exec_lo
	s_and_b32 s25, s27, exec_lo
	s_or_b32 s25, s11, s25
	s_andn2_b32 exec_lo, exec_lo, s24
	s_cbranch_execz .LBB0_231
.LBB0_226:                              ;   Parent Loop BB0_44 Depth=1
                                        ;     Parent Loop BB0_221 Depth=2
                                        ; =>    This Inner Loop Header: Depth=3
	s_sleep 1
	s_waitcnt vmcnt(0) lgkmcnt(0)
	flat_load_dwordx2 v[52:53], v[50:51] glc dlc
	v_mov_b32_e32 v45, 1
	s_or_b32 s27, s27, exec_lo
	s_or_b32 s26, s26, exec_lo
                                        ; implicit-def: $vgpr16
	s_and_saveexec_b32 s29, vcc_lo
	s_cbranch_execz .LBB0_225
; %bb.227:                              ;   in Loop: Header=BB0_226 Depth=3
	s_add_i32 s28, s28, 1
	s_mov_b32 s40, -1
	s_cmpk_lg_i32 s28, 0x2710
	s_mov_b32 s41, -1
	s_cselect_b32 s42, -1, 0
	s_cmpk_eq_i32 s28, 0x2710
                                        ; implicit-def: $vgpr16
	s_cbranch_scc1 .LBB0_229
; %bb.228:                              ;   in Loop: Header=BB0_226 Depth=3
	v_mov_b32_e32 v45, 1
	s_and_saveexec_b32 s43, s42
	s_cbranch_execz .LBB0_224
	s_branch .LBB0_230
.LBB0_229:                              ;   in Loop: Header=BB0_226 Depth=3
	s_trap 2
	ds_read_b64 v[20:21], v0
	s_andn2_b32 s28, s42, exec_lo
	s_mov_b32 s41, 0
	s_waitcnt vmcnt(0) lgkmcnt(0)
	s_waitcnt_vscnt null, 0x0
	flat_load_dword v16, v[20:21] glc dlc
	s_waitcnt vmcnt(0) lgkmcnt(0)
	buffer_gl1_inv
	buffer_gl0_inv
	v_cmp_eq_u32_e64 s11, 0, v16
	s_and_b32 s11, s11, exec_lo
	s_or_b32 s42, s28, s11
	s_mov_b32 s28, 0
	v_mov_b32_e32 v45, 1
	s_and_saveexec_b32 s43, s42
	s_cbranch_execz .LBB0_224
.LBB0_230:                              ;   in Loop: Header=BB0_226 Depth=3
	s_waitcnt vmcnt(0) lgkmcnt(0)
	v_add_co_u32 v20, s11, v52, 8
	v_add_co_ci_u32_e64 v21, null, 0, v53, s11
	v_mov_b32_e32 v45, 0
	s_or_b32 s41, s41, exec_lo
	v_cmp_ge_u64_e64 s11, v[20:21], v[17:18]
	s_orn2_b32 s40, s11, exec_lo
	s_branch .LBB0_224
.LBB0_231:                              ;   in Loop: Header=BB0_221 Depth=2
	s_or_b32 exec_lo, exec_lo, s24
	s_xor_b32 s11, s25, -1
	s_and_saveexec_b32 s24, s11
	s_xor_b32 s11, exec_lo, s24
	s_cbranch_execz .LBB0_233
; %bb.232:                              ;   in Loop: Header=BB0_221 Depth=2
	v_mov_b32_e32 v45, 1
	s_waitcnt vmcnt(0) lgkmcnt(0)
	s_waitcnt_vscnt null, 0x0
	ds_write_b32 v0, v16
	s_trap 2
.LBB0_233:                              ;   in Loop: Header=BB0_221 Depth=2
	s_or_b32 exec_lo, exec_lo, s11
.LBB0_234:                              ;   in Loop: Header=BB0_221 Depth=2
	s_or_b32 exec_lo, exec_lo, s23
	s_and_saveexec_b32 s11, s6
	s_cbranch_execz .LBB0_236
; %bb.235:                              ;   in Loop: Header=BB0_221 Depth=2
	v_and_b32_e32 v54, 0x7ffffff8, v15
	v_and_b32_e32 v16, 7, v15
	v_cmp_eq_u64_e32 vcc_lo, 0x7ffffff8, v[54:55]
	v_mad_u64_u32 v[20:21], null, v16, 24, v[13:14]
	v_cndmask_b32_e64 v15, v47, s15, vcc_lo
	v_ashrrev_i32_e32 v16, 31, v15
	flat_store_dwordx2 v[20:21], v[15:16] offset:8
	s_waitcnt_vscnt null, 0x0
.LBB0_236:                              ;   in Loop: Header=BB0_221 Depth=2
	s_or_b32 exec_lo, exec_lo, s11
	v_mov_b32_e32 v15, v17
	v_mov_b32_e32 v16, v18
.LBB0_237:                              ;   in Loop: Header=BB0_221 Depth=2
	s_or_b32 exec_lo, exec_lo, s12
	s_and_saveexec_b32 s11, s7
	s_cbranch_execz .LBB0_256
; %bb.238:                              ;   in Loop: Header=BB0_221 Depth=2
	s_and_saveexec_b32 s12, s19
	s_xor_b32 s12, exec_lo, s12
	s_cbranch_execz .LBB0_253
; %bb.239:                              ;   in Loop: Header=BB0_221 Depth=2
	s_and_saveexec_b32 s23, s8
	s_cbranch_execz .LBB0_252
; %bb.240:                              ;   in Loop: Header=BB0_221 Depth=2
	s_mov_b32 s25, exec_lo
	s_mov_b32 s24, exec_lo
	v_mbcnt_lo_u32_b32 v17, s25, 0
	s_waitcnt vmcnt(0) lgkmcnt(0)
	s_waitcnt_vscnt null, 0x0
	buffer_gl1_inv
	buffer_gl0_inv
	v_cmpx_eq_u32_e32 0, v17
	s_cbranch_execz .LBB0_242
; %bb.241:                              ;   in Loop: Header=BB0_221 Depth=2
	s_bcnt1_i32_b32 s25, s25
	v_mov_b32_e32 v54, s25
	ds_add_u64 v0, v[54:55]
	s_trap 2
.LBB0_242:                              ;   in Loop: Header=BB0_221 Depth=2
	s_or_b32 exec_lo, exec_lo, s24
	s_trap 2
	ds_read_b64 v[17:18], v0
	s_waitcnt lgkmcnt(0)
	buffer_gl0_inv
	v_add_co_u32 v2, vcc_lo, v2, v102
	v_add_co_ci_u32_e64 v3, null, 0, v3, vcc_lo
	s_mov_b32 s24, exec_lo
	v_cmpx_lt_u64_e64 v[17:18], v[2:3]
	s_cbranch_execz .LBB0_251
; %bb.243:                              ;   in Loop: Header=BB0_221 Depth=2
	s_mov_b32 s25, 0
	s_mov_b32 s28, 0
                                        ; implicit-def: $sgpr26
                                        ; implicit-def: $sgpr27
	s_inst_prefetch 0x1
	s_branch .LBB0_245
	.p2align	6
.LBB0_244:                              ;   in Loop: Header=BB0_245 Depth=3
	s_or_b32 exec_lo, exec_lo, s40
	s_and_b32 s29, exec_lo, s41
	s_or_b32 s25, s29, s25
	s_andn2_b32 s26, s26, exec_lo
	s_and_b32 s29, s27, exec_lo
	s_or_b32 s26, s26, s29
	s_andn2_b32 exec_lo, exec_lo, s25
	s_cbranch_execz .LBB0_249
.LBB0_245:                              ;   Parent Loop BB0_44 Depth=1
                                        ;     Parent Loop BB0_221 Depth=2
                                        ; =>    This Inner Loop Header: Depth=3
	s_add_i32 s28, s28, 1
	s_cmpk_lg_i32 s28, 0x2710
	s_cselect_b32 s29, -1, 0
	s_and_b32 vcc_lo, exec_lo, s29
	s_cbranch_vccz .LBB0_247
; %bb.246:                              ;   in Loop: Header=BB0_245 Depth=3
	s_mov_b32 s41, -1
	s_or_b32 s27, s27, exec_lo
	s_and_saveexec_b32 s40, s29
	s_cbranch_execz .LBB0_244
	s_branch .LBB0_248
	.p2align	6
.LBB0_247:                              ;   in Loop: Header=BB0_245 Depth=3
	s_trap 2
	ds_read_b64 v[17:18], v0
	s_andn2_b32 s29, s29, exec_lo
	s_mov_b32 s28, 0
	s_waitcnt lgkmcnt(0)
	flat_load_dword v17, v[17:18] glc dlc
	s_waitcnt vmcnt(0) lgkmcnt(0)
	buffer_gl1_inv
	buffer_gl0_inv
	v_cmp_eq_u32_e32 vcc_lo, 0, v17
	s_and_b32 s40, vcc_lo, exec_lo
	s_or_b32 s29, s29, s40
	s_mov_b32 s41, -1
	s_or_b32 s27, s27, exec_lo
	s_and_saveexec_b32 s40, s29
	s_cbranch_execz .LBB0_244
.LBB0_248:                              ;   in Loop: Header=BB0_245 Depth=3
	s_sleep 1
	s_trap 2
	ds_read_b64 v[17:18], v0
	s_waitcnt lgkmcnt(0)
	buffer_gl0_inv
	s_andn2_b32 s27, s27, exec_lo
	v_cmp_ge_u64_e32 vcc_lo, v[17:18], v[2:3]
	s_orn2_b32 s41, vcc_lo, exec_lo
	s_branch .LBB0_244
.LBB0_249:                              ;   in Loop: Header=BB0_221 Depth=2
	s_inst_prefetch 0x2
	s_or_b32 exec_lo, exec_lo, s25
	s_and_saveexec_b32 s25, s26
	s_xor_b32 s25, exec_lo, s25
	s_cbranch_execz .LBB0_251
; %bb.250:                              ;   in Loop: Header=BB0_221 Depth=2
	ds_write_b32 v0, v119
	s_trap 2
.LBB0_251:                              ;   in Loop: Header=BB0_221 Depth=2
	s_or_b32 exec_lo, exec_lo, s24
	;;#ASMSTART
	s_wakeup
	;;#ASMEND
.LBB0_252:                              ;   in Loop: Header=BB0_221 Depth=2
	s_or_b32 exec_lo, exec_lo, s23
.LBB0_253:                              ;   in Loop: Header=BB0_221 Depth=2
	s_andn2_saveexec_b32 s12, s12
	s_cbranch_execz .LBB0_255
; %bb.254:                              ;   in Loop: Header=BB0_221 Depth=2
	s_waitcnt vmcnt(0) lgkmcnt(0)
	s_waitcnt_vscnt null, 0x0
	buffer_gl1_inv
	buffer_gl0_inv
	s_barrier
.LBB0_255:                              ;   in Loop: Header=BB0_221 Depth=2
	s_or_b32 exec_lo, exec_lo, s12
.LBB0_256:                              ;   in Loop: Header=BB0_221 Depth=2
	s_or_b32 exec_lo, exec_lo, s11
	v_add_nc_u32_e32 v18, 1, v70
	v_mov_b32_e32 v82, v4
	s_and_saveexec_b32 s12, s10
	s_cbranch_execnz .LBB0_263
; %bb.257:                              ;   in Loop: Header=BB0_221 Depth=2
	s_or_b32 exec_lo, exec_lo, s12
	s_and_saveexec_b32 s11, s7
	s_cbranch_execnz .LBB0_602
.LBB0_258:                              ;   in Loop: Header=BB0_221 Depth=2
	s_or_b32 exec_lo, exec_lo, s11
	s_and_saveexec_b32 s11, s9
	s_cbranch_execz .LBB0_260
.LBB0_259:                              ;   in Loop: Header=BB0_221 Depth=2
	v_add_co_u32 v38, vcc_lo, v38, 1
	v_add_co_ci_u32_e64 v39, null, 0, v39, vcc_lo
	s_waitcnt vmcnt(0) lgkmcnt(0)
	s_waitcnt_vscnt null, 0x0
	flat_store_dwordx2 v[48:49], v[38:39]
.LBB0_260:                              ;   in Loop: Header=BB0_221 Depth=2
	s_or_b32 exec_lo, exec_lo, s11
	v_and_b32_e32 v54, 0x7ffffff8, v70
	v_cmp_gt_i32_e64 s11, s18, v82
	v_cmp_eq_u64_e32 vcc_lo, 0x7ffffff8, v[54:55]
	s_and_b32 s11, vcc_lo, s11
	s_and_saveexec_b32 s12, s11
	s_cbranch_execz .LBB0_220
; %bb.261:                              ;   in Loop: Header=BB0_221 Depth=2
	v_and_b32_e32 v17, 7, v58
	v_ashrrev_i32_e32 v83, 31, v82
	s_mov_b32 s23, 0
	s_waitcnt vmcnt(0) lgkmcnt(0)
	v_mul_lo_u32 v19, s18, v17
	v_lshlrev_b64 v[21:22], 4, v[82:83]
	v_mov_b32_e32 v17, v55
	v_ashrrev_i32_e32 v20, 31, v19
	v_lshlrev_b64 v[19:20], 4, v[19:20]
	v_add_co_u32 v19, vcc_lo, v21, v19
	v_add_co_ci_u32_e64 v20, null, v22, v20, vcc_lo
	v_add_co_u32 v21, vcc_lo, v36, v19
	v_add_co_ci_u32_e64 v22, null, v37, v20, vcc_lo
.LBB0_262:                              ;   Parent Loop BB0_44 Depth=1
                                        ;     Parent Loop BB0_221 Depth=2
                                        ; =>    This Inner Loop Header: Depth=3
	v_mov_b32_e32 v19, v17
	v_add_nc_u32_e32 v82, v82, v1
	v_mov_b32_e32 v20, v18
	v_cmp_le_i32_e32 vcc_lo, s18, v82
	global_store_dwordx4 v[21:22], v[17:20], off
	v_add_co_u32 v21, s11, v21, v9
	v_add_co_ci_u32_e64 v22, null, v22, v10, s11
	s_or_b32 s23, vcc_lo, s23
	s_andn2_b32 exec_lo, exec_lo, s23
	s_cbranch_execnz .LBB0_262
	s_branch .LBB0_220
.LBB0_263:                              ;   in Loop: Header=BB0_221 Depth=2
	v_and_b32_e32 v17, 7, v34
	v_and_b32_e32 v21, 7, v70
	s_waitcnt vmcnt(0) lgkmcnt(0)
	v_mad_u64_u32 v[84:85], null, v99, v19, v[80:81]
	v_mul_lo_u32 v22, v100, v19
	v_mul_lo_u32 v20, v17, s18
	v_ashrrev_i32_e32 v17, 31, v19
	v_mul_lo_u32 v82, v21, s18
	v_add_nc_u32_e32 v59, 1, v34
	v_mov_b32_e32 v60, v46
	s_mov_b32 s23, 0
	v_mul_lo_u32 v17, v99, v17
	v_ashrrev_i32_e32 v21, 31, v20
	v_ashrrev_i32_e32 v83, 31, v82
	v_lshlrev_b64 v[19:20], 4, v[20:21]
	v_add3_u32 v85, v22, v85, v17
	v_lshlrev_b64 v[21:22], 4, v[82:83]
	v_mov_b32_e32 v82, v4
	v_add_co_u32 v61, vcc_lo, v32, v19
	v_add_co_ci_u32_e64 v62, null, v33, v20, vcc_lo
	v_add_co_u32 v63, vcc_lo, v36, v21
	v_add_co_ci_u32_e64 v72, null, v37, v22, vcc_lo
	s_branch .LBB0_267
.LBB0_264:                              ;   in Loop: Header=BB0_267 Depth=3
	s_or_b32 exec_lo, exec_lo, s11
	v_lshrrev_b32_e32 v97, 20, v97
	v_min_i32_e32 v74, 15, v54
	v_cmp_gt_i32_e32 vcc_lo, 16, v54
	v_and_b32_sdwa v21, v21, v41 dst_sel:DWORD dst_unused:UNUSED_PAD src0_sel:BYTE_3 src1_sel:DWORD
	v_lshlrev_b32_e32 v74, 3, v74
	v_cndmask_b32_e32 v97, 7, v97, vcc_lo
	v_and_b32_e32 v74, 0xf8, v74
	v_and_b32_e32 v75, 7, v97
	v_or_b32_e32 v54, v54, v97
	v_or3_b32 v21, v21, v74, v75
	v_cmp_ne_u32_e32 vcc_lo, 0, v54
	v_lshlrev_b32_e32 v21, 8, v21
	v_cndmask_b32_e32 v54, 0, v21, vcc_lo
.LBB0_265:                              ;   in Loop: Header=BB0_267 Depth=3
	s_or_b32 exec_lo, exec_lo, s25
.LBB0_266:                              ;   in Loop: Header=BB0_267 Depth=3
	s_or_b32 exec_lo, exec_lo, s24
	v_sub_nc_u32_e32 v60, v60, v103
	v_add_co_u32 v84, vcc_lo, v84, v103
	v_or_b32_e32 v17, v83, v17
	v_or_b32_sdwa v19, v19, v96 dst_sel:WORD_1 dst_unused:UNUSED_PAD src0_sel:DWORD src1_sel:DWORD
	v_or_b32_e32 v83, v73, v22
	v_or_b32_sdwa v20, v54, v20 dst_sel:WORD_1 dst_unused:UNUSED_PAD src0_sel:DWORD src1_sel:DWORD
	v_add_co_ci_u32_e64 v85, null, 0, v85, vcc_lo
	v_add_co_u32 v21, vcc_lo, v63, v86
	v_add_co_ci_u32_e64 v22, null, v72, v87, vcc_lo
	v_cmp_gt_i32_e32 vcc_lo, 1, v60
	v_or3_b32 v17, v17, v19, 0
	v_or3_b32 v19, v83, v20, 0
	v_mov_b32_e32 v20, v18
	v_add_nc_u32_e32 v82, v82, v1
	s_or_b32 s23, vcc_lo, s23
	global_store_dwordx4 v[21:22], v[17:20], off
	s_andn2_b32 exec_lo, exec_lo, s23
	s_cbranch_execz .LBB0_601
.LBB0_267:                              ;   Parent Loop BB0_44 Depth=1
                                        ;     Parent Loop BB0_221 Depth=2
                                        ; =>    This Loop Header: Depth=3
                                        ;         Child Loop BB0_275 Depth 4
	v_and_b32_e32 v19, -4, v84
	v_mov_b32_e32 v20, v85
	v_min_u32_e32 v21, 8, v60
	v_and_b32_e32 v22, 3, v84
	v_mov_b32_e32 v74, 0
	v_mov_b32_e32 v75, 0
	global_load_dword v17, v[19:20], off slc
	s_mov_b32 s11, exec_lo
	v_add_nc_u32_e32 v54, v22, v21
	v_cmpx_lt_u32_e32 4, v54
	s_cbranch_execz .LBB0_269
; %bb.268:                              ;   in Loop: Header=BB0_267 Depth=3
	global_load_dword v75, v[19:20], off offset:4 slc
.LBB0_269:                              ;   in Loop: Header=BB0_267 Depth=3
	s_or_b32 exec_lo, exec_lo, s11
	s_mov_b32 s11, exec_lo
	v_cmpx_lt_u64_e32 8, v[54:55]
	s_cbranch_execz .LBB0_271
; %bb.270:                              ;   in Loop: Header=BB0_267 Depth=3
	global_load_dword v74, v[19:20], off offset:8 slc
.LBB0_271:                              ;   in Loop: Header=BB0_267 Depth=3
	s_or_b32 exec_lo, exec_lo, s11
	v_mov_b32_e32 v83, v55
	v_lshlrev_b64 v[86:87], 4, v[82:83]
	v_add_co_u32 v96, vcc_lo, v61, v86
	v_add_co_ci_u32_e64 v97, null, v62, v87, vcc_lo
	v_cmp_eq_u32_e32 vcc_lo, 0, v45
	v_mov_b32_e32 v45, 1
	global_load_dwordx4 v[19:22], v[96:97], off slc
	s_and_saveexec_b32 s24, vcc_lo
	s_cbranch_execz .LBB0_283
; %bb.272:                              ;   in Loop: Header=BB0_267 Depth=3
	s_waitcnt vmcnt(0)
	v_cmp_ne_u32_e32 vcc_lo, v59, v20
	v_cmp_ne_u32_e64 s11, v59, v22
	v_mov_b32_e32 v45, 0
	s_or_b32 s11, vcc_lo, s11
	s_and_saveexec_b32 s25, s11
	s_cbranch_execz .LBB0_282
; %bb.273:                              ;   in Loop: Header=BB0_267 Depth=3
	s_mov_b32 s29, 1
	s_mov_b32 s27, 0
                                        ; implicit-def: $sgpr26
                                        ; implicit-def: $sgpr28
	s_inst_prefetch 0x1
	s_branch .LBB0_275
	.p2align	6
.LBB0_274:                              ;   in Loop: Header=BB0_275 Depth=4
	s_or_b32 exec_lo, exec_lo, s41
	s_and_b32 s11, exec_lo, s11
	s_or_b32 s27, s11, s27
	s_andn2_b32 s11, s26, exec_lo
	s_and_b32 s26, s28, exec_lo
	s_or_b32 s26, s11, s26
	s_andn2_b32 exec_lo, exec_lo, s27
	s_cbranch_execz .LBB0_279
.LBB0_275:                              ;   Parent Loop BB0_44 Depth=1
                                        ;     Parent Loop BB0_221 Depth=2
                                        ;       Parent Loop BB0_267 Depth=3
                                        ; =>      This Inner Loop Header: Depth=4
	global_load_dwordx4 v[19:22], v[96:97], off slc
	s_add_i32 s29, s29, 1
	s_mov_b32 s11, -1
	s_cmpk_lg_i32 s29, 0x2710
	s_mov_b32 s40, -1
                                        ; implicit-def: $vgpr54
	s_cbranch_scc0 .LBB0_277
; %bb.276:                              ;   in Loop: Header=BB0_275 Depth=4
	s_or_b32 s28, s28, exec_lo
	s_and_saveexec_b32 s41, s40
	s_cbranch_execz .LBB0_274
	s_branch .LBB0_278
	.p2align	6
.LBB0_277:                              ;   in Loop: Header=BB0_275 Depth=4
	s_trap 2
	ds_read_b64 v[76:77], v0
	s_mov_b32 s29, 0
	s_waitcnt vmcnt(0) lgkmcnt(0)
	s_waitcnt_vscnt null, 0x0
	flat_load_dword v54, v[76:77] glc dlc
	s_waitcnt vmcnt(0) lgkmcnt(0)
	buffer_gl1_inv
	buffer_gl0_inv
	v_cmp_eq_u32_e32 vcc_lo, 0, v54
	s_orn2_b32 s40, vcc_lo, exec_lo
	s_or_b32 s28, s28, exec_lo
	s_and_saveexec_b32 s41, s40
	s_cbranch_execz .LBB0_274
.LBB0_278:                              ;   in Loop: Header=BB0_275 Depth=4
	s_waitcnt vmcnt(0)
	v_cmp_eq_u32_e32 vcc_lo, v59, v20
	v_cmp_eq_u32_e64 s11, v59, v22
	s_andn2_b32 s28, s28, exec_lo
	s_and_b32 s11, vcc_lo, s11
	s_orn2_b32 s11, s11, exec_lo
	s_branch .LBB0_274
.LBB0_279:                              ;   in Loop: Header=BB0_267 Depth=3
	s_inst_prefetch 0x2
	s_or_b32 exec_lo, exec_lo, s27
	v_mov_b32_e32 v45, 0
	s_and_saveexec_b32 s11, s26
	s_xor_b32 s11, exec_lo, s11
	s_cbranch_execz .LBB0_281
; %bb.280:                              ;   in Loop: Header=BB0_267 Depth=3
	v_mov_b32_e32 v45, 1
	s_waitcnt vmcnt(0)
	s_waitcnt_vscnt null, 0x0
	ds_write_b32 v0, v54
	s_trap 2
.LBB0_281:                              ;   in Loop: Header=BB0_267 Depth=3
	s_or_b32 exec_lo, exec_lo, s11
.LBB0_282:                              ;   in Loop: Header=BB0_267 Depth=3
	s_or_b32 exec_lo, exec_lo, s25
.LBB0_283:                              ;   in Loop: Header=BB0_267 Depth=3
	s_or_b32 exec_lo, exec_lo, s24
	s_waitcnt vmcnt(0)
	v_lshlrev_b32_e32 v20, 3, v84
	s_mov_b32 s11, 0
	v_alignbit_b32 v22, v75, v17, v20
	v_cmp_gt_i16_sdwa s24, v22, v40 src0_sel:BYTE_0 src1_sel:DWORD
	s_and_saveexec_b32 s25, s24
	s_xor_b32 s24, exec_lo, s25
	s_cbranch_execnz .LBB0_505
; %bb.284:                              ;   in Loop: Header=BB0_267 Depth=3
	s_or_saveexec_b32 s24, s24
	v_mov_b32_e32 v17, 0x7f800001
	s_xor_b32 exec_lo, exec_lo, s24
	s_cbranch_execnz .LBB0_508
.LBB0_285:                              ;   in Loop: Header=BB0_267 Depth=3
	s_or_b32 exec_lo, exec_lo, s24
	s_and_saveexec_b32 s24, s11
	s_cbranch_execz .LBB0_287
.LBB0_286:                              ;   in Loop: Header=BB0_267 Depth=3
	v_and_b32_e32 v17, 7, v22
	v_bfe_u32 v96, v22, 3, 4
	v_lshlrev_b32_e32 v97, 24, v22
	v_ffbh_u32_e32 v54, v17
	v_cmp_eq_u32_e32 vcc_lo, 0, v96
	v_min_u32_e32 v54, 32, v54
	v_subrev_nc_u32_e32 v83, 28, v54
	v_sub_nc_u32_e32 v54, 29, v54
	v_lshlrev_b32_e32 v83, v83, v22
	v_cndmask_b32_e32 v54, v96, v54, vcc_lo
	v_and_b32_e32 v83, 7, v83
	v_lshl_add_u32 v54, v54, 23, 0x3b800000
	v_cndmask_b32_e32 v17, v17, v83, vcc_lo
	v_and_b32_e32 v83, 0x80000000, v97
	v_lshlrev_b32_e32 v17, 20, v17
	v_or3_b32 v17, v83, v54, v17
.LBB0_287:                              ;   in Loop: Header=BB0_267 Depth=3
	s_or_b32 exec_lo, exec_lo, s24
	v_mul_f32_e32 v54, v0, v17
	v_and_b32_e32 v17, 0x7f800000, v54
	v_cmp_ne_u32_e32 vcc_lo, 0x7f800000, v17
	v_mov_b32_e32 v17, 0x80
	s_and_saveexec_b32 s24, vcc_lo
	s_cbranch_execz .LBB0_295
; %bb.288:                              ;   in Loop: Header=BB0_267 Depth=3
	v_mov_b32_e32 v17, 0
	s_mov_b32 s25, exec_lo
	v_cmpx_ne_u32_e32 0, v54
	s_cbranch_execz .LBB0_294
; %bb.289:                              ;   in Loop: Header=BB0_267 Depth=3
	v_bfe_u32 v17, v54, 23, 8
	v_and_b32_e32 v83, 0x7fffff, v54
	v_sub_nc_u32_e32 v96, 0x78, v17
	v_cmp_gt_u32_e32 vcc_lo, 0x79, v17
	v_or_b32_e32 v97, 0x800000, v83
	v_cndmask_b32_e32 v96, 0, v96, vcc_lo
	v_cmp_eq_u32_e32 vcc_lo, 0, v17
	v_add_nc_u32_e32 v17, 0xffffff89, v17
	v_cndmask_b32_e64 v96, v96, 0x77, vcc_lo
	v_cndmask_b32_e32 v83, v97, v83, vcc_lo
	v_cndmask_b32_e64 v17, v17, 0xffffff8a, vcc_lo
	v_lshl_add_u32 v97, 0x100000, v96, -1
	v_lshrrev_b32_e32 v73, v96, v83
	v_lshlrev_b32_e64 v77, v96, 0x80000
	v_add_nc_u32_e32 v96, v96, v17
	v_and_b32_e32 v83, v97, v83
	v_bfe_u32 v76, v73, 20, 1
	v_cmp_eq_u32_e64 s11, v83, v77
	v_add_nc_u32_e32 v97, -1, v76
	v_cndmask_b32_e64 v83, 0, v97, s11
	v_lshrrev_b32_e32 v97, 23, v73
	s_mov_b32 s11, exec_lo
	v_add_nc_u32_e32 v83, v83, v73
	v_xor_b32_e32 v97, 1, v97
	v_and_b32_e32 v17, 0xfffff, v83
	v_add_nc_u32_e32 v83, v17, v73
                                        ; implicit-def: $vgpr17
	v_cmpx_ne_u32_e64 v96, v97
	s_xor_b32 s11, exec_lo, s11
; %bb.290:                              ;   in Loop: Header=BB0_267 Depth=3
	v_cmp_lt_u32_e32 vcc_lo, 0xffffff, v83
	v_sub_nc_u32_e32 v17, v96, v97
	v_cndmask_b32_e64 v96, 0, 1, vcc_lo
	v_add_co_ci_u32_e64 v17, null, 0, v17, vcc_lo
	v_lshrrev_b32_e32 v83, v96, v83
; %bb.291:                              ;   in Loop: Header=BB0_267 Depth=3
	s_andn2_saveexec_b32 s11, s11
; %bb.292:                              ;   in Loop: Header=BB0_267 Depth=3
	v_bfe_u32 v17, v83, 23, 1
; %bb.293:                              ;   in Loop: Header=BB0_267 Depth=3
	s_or_b32 exec_lo, exec_lo, s11
	v_lshrrev_b32_e32 v83, 20, v83
	v_min_i32_e32 v96, 15, v17
	v_cmp_gt_i32_e32 vcc_lo, 16, v17
	v_and_b32_sdwa v54, v54, v41 dst_sel:DWORD dst_unused:UNUSED_PAD src0_sel:BYTE_3 src1_sel:DWORD
	v_lshlrev_b32_e32 v96, 3, v96
	v_cndmask_b32_e32 v83, 7, v83, vcc_lo
	v_and_b32_e32 v96, 0xf8, v96
	v_and_b32_e32 v97, 7, v83
	v_or_b32_e32 v17, v17, v83
	v_or3_b32 v54, v96, v54, v97
	v_cmp_ne_u32_e32 vcc_lo, 0, v17
	v_cndmask_b32_e32 v17, 0, v54, vcc_lo
.LBB0_294:                              ;   in Loop: Header=BB0_267 Depth=3
	s_or_b32 exec_lo, exec_lo, s25
.LBB0_295:                              ;   in Loop: Header=BB0_267 Depth=3
	s_or_b32 exec_lo, exec_lo, s24
	v_cmp_gt_i16_sdwa s24, v22, v40 src0_sel:BYTE_1 src1_sel:DWORD
	s_mov_b32 s11, 0
	s_and_saveexec_b32 s25, s24
	s_xor_b32 s24, exec_lo, s25
	s_cbranch_execnz .LBB0_509
; %bb.296:                              ;   in Loop: Header=BB0_267 Depth=3
	s_or_saveexec_b32 s24, s24
	v_mov_b32_e32 v54, 0x7f800001
	s_xor_b32 exec_lo, exec_lo, s24
	s_cbranch_execnz .LBB0_512
.LBB0_297:                              ;   in Loop: Header=BB0_267 Depth=3
	s_or_b32 exec_lo, exec_lo, s24
	s_and_saveexec_b32 s24, s11
	s_cbranch_execz .LBB0_299
.LBB0_298:                              ;   in Loop: Header=BB0_267 Depth=3
	v_and_b32_sdwa v54, v42, v22 dst_sel:DWORD dst_unused:UNUSED_PAD src0_sel:DWORD src1_sel:BYTE_1
	v_and_b32_e32 v83, 7, v54
	v_bfe_u32 v73, v54, 3, 4
	v_ffbh_u32_e32 v96, v83
	v_cmp_eq_u32_e32 vcc_lo, 0, v73
	v_min_u32_e32 v96, 32, v96
	v_subrev_nc_u32_e32 v97, 28, v96
	v_sub_nc_u32_e32 v96, 29, v96
	v_lshlrev_b32_e32 v54, v97, v54
	v_lshlrev_b32_sdwa v97, v43, v22 dst_sel:DWORD dst_unused:UNUSED_PAD src0_sel:DWORD src1_sel:BYTE_1
	v_cndmask_b32_e32 v96, v73, v96, vcc_lo
	v_and_b32_e32 v54, 7, v54
	v_lshl_add_u32 v96, v96, 23, 0x3b800000
	v_cndmask_b32_e32 v54, v83, v54, vcc_lo
	v_and_b32_e32 v83, 0x80000000, v97
	v_lshlrev_b32_e32 v54, 20, v54
	v_or3_b32 v54, v83, v96, v54
.LBB0_299:                              ;   in Loop: Header=BB0_267 Depth=3
	s_or_b32 exec_lo, exec_lo, s24
	v_mul_f32_e32 v54, v0, v54
	v_and_b32_e32 v83, 0x7f800000, v54
	v_cmp_ne_u32_e32 vcc_lo, 0x7f800000, v83
	v_mov_b32_e32 v83, 0x8000
	s_and_saveexec_b32 s24, vcc_lo
	s_cbranch_execz .LBB0_307
; %bb.300:                              ;   in Loop: Header=BB0_267 Depth=3
	v_mov_b32_e32 v83, 0
	s_mov_b32 s25, exec_lo
	v_cmpx_ne_u32_e32 0, v54
	s_cbranch_execz .LBB0_306
; %bb.301:                              ;   in Loop: Header=BB0_267 Depth=3
	v_bfe_u32 v83, v54, 23, 8
	v_and_b32_e32 v96, 0x7fffff, v54
	v_sub_nc_u32_e32 v97, 0x78, v83
	v_cmp_gt_u32_e32 vcc_lo, 0x79, v83
	v_or_b32_e32 v73, 0x800000, v96
	v_cndmask_b32_e32 v97, 0, v97, vcc_lo
	v_cmp_eq_u32_e32 vcc_lo, 0, v83
	v_add_nc_u32_e32 v83, 0xffffff89, v83
	v_cndmask_b32_e64 v97, v97, 0x77, vcc_lo
	v_cndmask_b32_e32 v96, v73, v96, vcc_lo
	v_cndmask_b32_e64 v83, v83, 0xffffff8a, vcc_lo
	v_lshl_add_u32 v73, 0x100000, v97, -1
	v_lshrrev_b32_e32 v76, v97, v96
	v_lshlrev_b32_e64 v78, v97, 0x80000
	v_add_nc_u32_e32 v97, v97, v83
	v_and_b32_e32 v96, v73, v96
	v_bfe_u32 v77, v76, 20, 1
	v_cmp_eq_u32_e64 s11, v96, v78
	v_add_nc_u32_e32 v73, -1, v77
	v_cndmask_b32_e64 v96, 0, v73, s11
	v_lshrrev_b32_e32 v73, 23, v76
	s_mov_b32 s11, exec_lo
	v_add_nc_u32_e32 v96, v96, v76
	v_xor_b32_e32 v73, 1, v73
	v_and_b32_e32 v83, 0xfffff, v96
	v_add_nc_u32_e32 v96, v83, v76
                                        ; implicit-def: $vgpr83
	v_cmpx_ne_u32_e64 v97, v73
	s_xor_b32 s11, exec_lo, s11
; %bb.302:                              ;   in Loop: Header=BB0_267 Depth=3
	v_cmp_lt_u32_e32 vcc_lo, 0xffffff, v96
	v_sub_nc_u32_e32 v83, v97, v73
	v_cndmask_b32_e64 v97, 0, 1, vcc_lo
	v_add_co_ci_u32_e64 v83, null, 0, v83, vcc_lo
	v_lshrrev_b32_e32 v96, v97, v96
; %bb.303:                              ;   in Loop: Header=BB0_267 Depth=3
	s_andn2_saveexec_b32 s11, s11
; %bb.304:                              ;   in Loop: Header=BB0_267 Depth=3
	v_bfe_u32 v83, v96, 23, 1
; %bb.305:                              ;   in Loop: Header=BB0_267 Depth=3
	s_or_b32 exec_lo, exec_lo, s11
	v_lshrrev_b32_e32 v96, 20, v96
	v_min_i32_e32 v97, 15, v83
	v_cmp_gt_i32_e32 vcc_lo, 16, v83
	v_and_b32_sdwa v54, v54, v41 dst_sel:DWORD dst_unused:UNUSED_PAD src0_sel:BYTE_3 src1_sel:DWORD
	v_lshlrev_b32_e32 v97, 3, v97
	v_cndmask_b32_e32 v96, 7, v96, vcc_lo
	v_and_b32_e32 v97, 0xf8, v97
	v_and_b32_e32 v73, 7, v96
	v_or_b32_e32 v83, v83, v96
	v_or3_b32 v54, v54, v97, v73
	v_cmp_ne_u32_e32 vcc_lo, 0, v83
	v_lshlrev_b32_e32 v54, 8, v54
	v_cndmask_b32_e32 v83, 0, v54, vcc_lo
.LBB0_306:                              ;   in Loop: Header=BB0_267 Depth=3
	s_or_b32 exec_lo, exec_lo, s25
.LBB0_307:                              ;   in Loop: Header=BB0_267 Depth=3
	s_or_b32 exec_lo, exec_lo, s24
	v_and_b32_sdwa v96, v22, v44 dst_sel:DWORD dst_unused:UNUSED_PAD src0_sel:WORD_1 src1_sel:DWORD
	s_mov_b32 s11, 0
	s_mov_b32 s24, exec_lo
	v_cmpx_lt_i16_e32 0x7f, v96
	s_xor_b32 s24, exec_lo, s24
	s_cbranch_execnz .LBB0_513
; %bb.308:                              ;   in Loop: Header=BB0_267 Depth=3
	s_or_saveexec_b32 s24, s24
	v_mov_b32_e32 v54, 0x7f800001
	s_xor_b32 exec_lo, exec_lo, s24
	s_cbranch_execnz .LBB0_516
.LBB0_309:                              ;   in Loop: Header=BB0_267 Depth=3
	s_or_b32 exec_lo, exec_lo, s24
	s_and_saveexec_b32 s24, s11
	s_cbranch_execz .LBB0_311
.LBB0_310:                              ;   in Loop: Header=BB0_267 Depth=3
	v_bfe_u32 v54, v22, 16, 3
	v_bfe_u32 v73, v22, 19, 4
	v_lshlrev_b32_e32 v76, 8, v22
	v_ffbh_u32_e32 v96, v54
	v_cmp_eq_u32_e32 vcc_lo, 0, v73
	v_min_u32_e32 v96, 32, v96
	v_subrev_nc_u32_e32 v97, 28, v96
	v_sub_nc_u32_e32 v96, 29, v96
	v_lshlrev_b32_sdwa v97, v97, v22 dst_sel:DWORD dst_unused:UNUSED_PAD src0_sel:DWORD src1_sel:WORD_1
	v_cndmask_b32_e32 v96, v73, v96, vcc_lo
	v_and_b32_e32 v97, 7, v97
	v_lshl_add_u32 v96, v96, 23, 0x3b800000
	v_cndmask_b32_e32 v54, v54, v97, vcc_lo
	v_and_b32_e32 v97, 0x80000000, v76
	v_lshlrev_b32_e32 v54, 20, v54
	v_or3_b32 v54, v97, v96, v54
.LBB0_311:                              ;   in Loop: Header=BB0_267 Depth=3
	s_or_b32 exec_lo, exec_lo, s24
	v_mul_f32_e32 v54, v0, v54
	v_and_b32_e32 v96, 0x7f800000, v54
	v_cmp_ne_u32_e32 vcc_lo, 0x7f800000, v96
	v_mov_b32_e32 v96, 0x80
	s_and_saveexec_b32 s24, vcc_lo
	s_cbranch_execz .LBB0_319
; %bb.312:                              ;   in Loop: Header=BB0_267 Depth=3
	v_mov_b32_e32 v96, 0
	s_mov_b32 s25, exec_lo
	v_cmpx_ne_u32_e32 0, v54
	s_cbranch_execz .LBB0_318
; %bb.313:                              ;   in Loop: Header=BB0_267 Depth=3
	v_bfe_u32 v96, v54, 23, 8
	v_and_b32_e32 v97, 0x7fffff, v54
	v_sub_nc_u32_e32 v73, 0x78, v96
	v_cmp_gt_u32_e32 vcc_lo, 0x79, v96
	v_or_b32_e32 v76, 0x800000, v97
	v_cndmask_b32_e32 v73, 0, v73, vcc_lo
	v_cmp_eq_u32_e32 vcc_lo, 0, v96
	v_add_nc_u32_e32 v96, 0xffffff89, v96
	v_cndmask_b32_e64 v73, v73, 0x77, vcc_lo
	v_cndmask_b32_e32 v97, v76, v97, vcc_lo
	v_cndmask_b32_e64 v96, v96, 0xffffff8a, vcc_lo
	v_lshl_add_u32 v76, 0x100000, v73, -1
	v_lshrrev_b32_e32 v77, v73, v97
	v_lshlrev_b32_e64 v79, v73, 0x80000
	v_add_nc_u32_e32 v73, v73, v96
	v_and_b32_e32 v97, v76, v97
	v_bfe_u32 v78, v77, 20, 1
	v_cmp_eq_u32_e64 s11, v97, v79
	v_add_nc_u32_e32 v76, -1, v78
	v_cndmask_b32_e64 v97, 0, v76, s11
	v_lshrrev_b32_e32 v76, 23, v77
	s_mov_b32 s11, exec_lo
	v_add_nc_u32_e32 v97, v97, v77
	v_xor_b32_e32 v76, 1, v76
	v_and_b32_e32 v96, 0xfffff, v97
	v_add_nc_u32_e32 v97, v96, v77
                                        ; implicit-def: $vgpr96
	v_cmpx_ne_u32_e64 v73, v76
	s_xor_b32 s11, exec_lo, s11
; %bb.314:                              ;   in Loop: Header=BB0_267 Depth=3
	v_cmp_lt_u32_e32 vcc_lo, 0xffffff, v97
	v_sub_nc_u32_e32 v96, v73, v76
	v_cndmask_b32_e64 v73, 0, 1, vcc_lo
	v_add_co_ci_u32_e64 v96, null, 0, v96, vcc_lo
	v_lshrrev_b32_e32 v97, v73, v97
; %bb.315:                              ;   in Loop: Header=BB0_267 Depth=3
	s_andn2_saveexec_b32 s11, s11
; %bb.316:                              ;   in Loop: Header=BB0_267 Depth=3
	v_bfe_u32 v96, v97, 23, 1
; %bb.317:                              ;   in Loop: Header=BB0_267 Depth=3
	s_or_b32 exec_lo, exec_lo, s11
	v_lshrrev_b32_e32 v97, 20, v97
	v_min_i32_e32 v73, 15, v96
	v_cmp_gt_i32_e32 vcc_lo, 16, v96
	v_and_b32_sdwa v54, v54, v41 dst_sel:DWORD dst_unused:UNUSED_PAD src0_sel:BYTE_3 src1_sel:DWORD
	v_lshlrev_b32_e32 v73, 3, v73
	v_cndmask_b32_e32 v97, 7, v97, vcc_lo
	v_and_b32_e32 v73, 0xf8, v73
	v_and_b32_e32 v76, 7, v97
	v_or_b32_e32 v96, v96, v97
	v_or3_b32 v54, v73, v54, v76
	v_cmp_ne_u32_e32 vcc_lo, 0, v96
	v_cndmask_b32_e32 v96, 0, v54, vcc_lo
.LBB0_318:                              ;   in Loop: Header=BB0_267 Depth=3
	s_or_b32 exec_lo, exec_lo, s25
.LBB0_319:                              ;   in Loop: Header=BB0_267 Depth=3
	s_or_b32 exec_lo, exec_lo, s24
	v_cmp_gt_i16_sdwa s24, v22, v40 src0_sel:BYTE_3 src1_sel:DWORD
	s_mov_b32 s11, 0
	s_and_saveexec_b32 s25, s24
	s_xor_b32 s24, exec_lo, s25
	s_cbranch_execnz .LBB0_517
; %bb.320:                              ;   in Loop: Header=BB0_267 Depth=3
	s_or_saveexec_b32 s24, s24
	v_mov_b32_e32 v54, 0x7f800001
	s_xor_b32 exec_lo, exec_lo, s24
	s_cbranch_execnz .LBB0_520
.LBB0_321:                              ;   in Loop: Header=BB0_267 Depth=3
	s_or_b32 exec_lo, exec_lo, s24
	s_and_saveexec_b32 s24, s11
	s_cbranch_execz .LBB0_323
.LBB0_322:                              ;   in Loop: Header=BB0_267 Depth=3
	v_bfe_u32 v54, v22, 24, 3
	v_bfe_u32 v76, v22, 27, 4
	v_ffbh_u32_e32 v97, v54
	v_cmp_eq_u32_e32 vcc_lo, 0, v76
	v_min_u32_e32 v97, 32, v97
	v_subrev_nc_u32_e32 v73, 28, v97
	v_sub_nc_u32_e32 v97, 29, v97
	v_lshlrev_b32_sdwa v73, v73, v22 dst_sel:DWORD dst_unused:UNUSED_PAD src0_sel:DWORD src1_sel:BYTE_3
	v_cndmask_b32_e32 v97, v76, v97, vcc_lo
	v_and_b32_e32 v22, 0x80000000, v22
	v_and_b32_e32 v73, 7, v73
	v_lshl_add_u32 v97, v97, 23, 0x3b800000
	v_cndmask_b32_e32 v54, v54, v73, vcc_lo
	v_lshlrev_b32_e32 v54, 20, v54
	v_or3_b32 v54, v22, v97, v54
.LBB0_323:                              ;   in Loop: Header=BB0_267 Depth=3
	s_or_b32 exec_lo, exec_lo, s24
	v_mul_f32_e32 v22, v0, v54
	v_mov_b32_e32 v73, 0x8000
	s_mov_b32 s24, exec_lo
	v_and_b32_e32 v54, 0x7f800000, v22
	v_cmpx_ne_u32_e32 0x7f800000, v54
	s_cbranch_execz .LBB0_331
; %bb.324:                              ;   in Loop: Header=BB0_267 Depth=3
	v_mov_b32_e32 v73, 0
	s_mov_b32 s25, exec_lo
	v_cmpx_ne_u32_e32 0, v22
	s_cbranch_execz .LBB0_330
; %bb.325:                              ;   in Loop: Header=BB0_267 Depth=3
	v_bfe_u32 v54, v22, 23, 8
	v_and_b32_e32 v97, 0x7fffff, v22
	v_sub_nc_u32_e32 v73, 0x78, v54
	v_cmp_gt_u32_e32 vcc_lo, 0x79, v54
	v_or_b32_e32 v76, 0x800000, v97
	v_cndmask_b32_e32 v73, 0, v73, vcc_lo
	v_cmp_eq_u32_e32 vcc_lo, 0, v54
	v_add_nc_u32_e32 v54, 0xffffff89, v54
	v_cndmask_b32_e64 v73, v73, 0x77, vcc_lo
	v_cndmask_b32_e32 v97, v76, v97, vcc_lo
	v_cndmask_b32_e64 v54, v54, 0xffffff8a, vcc_lo
	v_lshl_add_u32 v76, 0x100000, v73, -1
	v_lshrrev_b32_e32 v77, v73, v97
	v_lshlrev_b32_e64 v79, v73, 0x80000
	v_add_nc_u32_e32 v73, v73, v54
	v_and_b32_e32 v97, v76, v97
	v_bfe_u32 v78, v77, 20, 1
	v_cmp_eq_u32_e64 s11, v97, v79
	v_add_nc_u32_e32 v76, -1, v78
	v_cndmask_b32_e64 v97, 0, v76, s11
	v_lshrrev_b32_e32 v76, 23, v77
	s_mov_b32 s11, exec_lo
	v_add_nc_u32_e32 v97, v97, v77
	v_xor_b32_e32 v76, 1, v76
	v_and_b32_e32 v54, 0xfffff, v97
	v_add_nc_u32_e32 v97, v54, v77
                                        ; implicit-def: $vgpr54
	v_cmpx_ne_u32_e64 v73, v76
	s_xor_b32 s11, exec_lo, s11
; %bb.326:                              ;   in Loop: Header=BB0_267 Depth=3
	v_cmp_lt_u32_e32 vcc_lo, 0xffffff, v97
	v_sub_nc_u32_e32 v54, v73, v76
	v_cndmask_b32_e64 v73, 0, 1, vcc_lo
	v_add_co_ci_u32_e64 v54, null, 0, v54, vcc_lo
	v_lshrrev_b32_e32 v97, v73, v97
; %bb.327:                              ;   in Loop: Header=BB0_267 Depth=3
	s_andn2_saveexec_b32 s11, s11
; %bb.328:                              ;   in Loop: Header=BB0_267 Depth=3
	v_bfe_u32 v54, v97, 23, 1
; %bb.329:                              ;   in Loop: Header=BB0_267 Depth=3
	s_or_b32 exec_lo, exec_lo, s11
	v_lshrrev_b32_e32 v97, 20, v97
	v_min_i32_e32 v73, 15, v54
	v_cmp_gt_i32_e32 vcc_lo, 16, v54
	v_and_b32_sdwa v22, v22, v41 dst_sel:DWORD dst_unused:UNUSED_PAD src0_sel:BYTE_3 src1_sel:DWORD
	v_lshlrev_b32_e32 v73, 3, v73
	v_cndmask_b32_e32 v97, 7, v97, vcc_lo
	v_and_b32_e32 v73, 0xf8, v73
	v_and_b32_e32 v76, 7, v97
	v_or_b32_e32 v54, v54, v97
	v_or3_b32 v22, v22, v73, v76
	v_cmp_ne_u32_e32 vcc_lo, 0, v54
	v_lshlrev_b32_e32 v22, 8, v22
	v_cndmask_b32_e32 v73, 0, v22, vcc_lo
.LBB0_330:                              ;   in Loop: Header=BB0_267 Depth=3
	s_or_b32 exec_lo, exec_lo, s25
.LBB0_331:                              ;   in Loop: Header=BB0_267 Depth=3
	s_or_b32 exec_lo, exec_lo, s24
	v_alignbit_b32 v54, v74, v75, v20
	s_mov_b32 s11, 0
	v_cmp_gt_i16_sdwa s24, v54, v40 src0_sel:BYTE_0 src1_sel:DWORD
	s_and_saveexec_b32 s25, s24
	s_xor_b32 s24, exec_lo, s25
	s_cbranch_execnz .LBB0_521
; %bb.332:                              ;   in Loop: Header=BB0_267 Depth=3
	s_or_saveexec_b32 s24, s24
	v_mov_b32_e32 v20, 0x7f800001
	s_xor_b32 exec_lo, exec_lo, s24
	s_cbranch_execnz .LBB0_524
.LBB0_333:                              ;   in Loop: Header=BB0_267 Depth=3
	s_or_b32 exec_lo, exec_lo, s24
	s_and_saveexec_b32 s24, s11
	s_cbranch_execz .LBB0_335
.LBB0_334:                              ;   in Loop: Header=BB0_267 Depth=3
	v_and_b32_e32 v20, 7, v54
	v_bfe_u32 v74, v54, 3, 4
	v_lshlrev_b32_e32 v75, 24, v54
	v_ffbh_u32_e32 v22, v20
	v_cmp_eq_u32_e32 vcc_lo, 0, v74
	v_min_u32_e32 v22, 32, v22
	v_subrev_nc_u32_e32 v97, 28, v22
	v_sub_nc_u32_e32 v22, 29, v22
	v_lshlrev_b32_e32 v97, v97, v54
	v_cndmask_b32_e32 v22, v74, v22, vcc_lo
	v_and_b32_e32 v97, 7, v97
	v_lshl_add_u32 v22, v22, 23, 0x3b800000
	v_cndmask_b32_e32 v20, v20, v97, vcc_lo
	v_and_b32_e32 v97, 0x80000000, v75
	v_lshlrev_b32_e32 v20, 20, v20
	v_or3_b32 v20, v97, v22, v20
.LBB0_335:                              ;   in Loop: Header=BB0_267 Depth=3
	s_or_b32 exec_lo, exec_lo, s24
	v_mul_f32_e32 v20, v0, v20
	v_and_b32_e32 v22, 0x7f800000, v20
	v_cmp_ne_u32_e32 vcc_lo, 0x7f800000, v22
	v_mov_b32_e32 v22, 0x80
	s_and_saveexec_b32 s24, vcc_lo
	s_cbranch_execz .LBB0_343
; %bb.336:                              ;   in Loop: Header=BB0_267 Depth=3
	v_mov_b32_e32 v22, 0
	s_mov_b32 s25, exec_lo
	v_cmpx_ne_u32_e32 0, v20
	s_cbranch_execz .LBB0_342
; %bb.337:                              ;   in Loop: Header=BB0_267 Depth=3
	v_bfe_u32 v22, v20, 23, 8
	v_and_b32_e32 v97, 0x7fffff, v20
	v_sub_nc_u32_e32 v74, 0x78, v22
	v_cmp_gt_u32_e32 vcc_lo, 0x79, v22
	v_or_b32_e32 v75, 0x800000, v97
	v_cndmask_b32_e32 v74, 0, v74, vcc_lo
	v_cmp_eq_u32_e32 vcc_lo, 0, v22
	v_add_nc_u32_e32 v22, 0xffffff89, v22
	v_cndmask_b32_e64 v74, v74, 0x77, vcc_lo
	v_cndmask_b32_e32 v97, v75, v97, vcc_lo
	v_cndmask_b32_e64 v22, v22, 0xffffff8a, vcc_lo
	v_lshl_add_u32 v75, 0x100000, v74, -1
	v_lshrrev_b32_e32 v76, v74, v97
	v_lshlrev_b32_e64 v78, v74, 0x80000
	v_add_nc_u32_e32 v74, v74, v22
	v_and_b32_e32 v97, v75, v97
	v_bfe_u32 v77, v76, 20, 1
	v_cmp_eq_u32_e64 s11, v97, v78
	v_add_nc_u32_e32 v75, -1, v77
	v_cndmask_b32_e64 v97, 0, v75, s11
	v_lshrrev_b32_e32 v75, 23, v76
	s_mov_b32 s11, exec_lo
	v_add_nc_u32_e32 v97, v97, v76
	v_xor_b32_e32 v75, 1, v75
	v_and_b32_e32 v22, 0xfffff, v97
	v_add_nc_u32_e32 v97, v22, v76
                                        ; implicit-def: $vgpr22
	v_cmpx_ne_u32_e64 v74, v75
	s_xor_b32 s11, exec_lo, s11
; %bb.338:                              ;   in Loop: Header=BB0_267 Depth=3
	v_cmp_lt_u32_e32 vcc_lo, 0xffffff, v97
	v_sub_nc_u32_e32 v22, v74, v75
	v_cndmask_b32_e64 v74, 0, 1, vcc_lo
	v_add_co_ci_u32_e64 v22, null, 0, v22, vcc_lo
	v_lshrrev_b32_e32 v97, v74, v97
; %bb.339:                              ;   in Loop: Header=BB0_267 Depth=3
	s_andn2_saveexec_b32 s11, s11
; %bb.340:                              ;   in Loop: Header=BB0_267 Depth=3
	v_bfe_u32 v22, v97, 23, 1
; %bb.341:                              ;   in Loop: Header=BB0_267 Depth=3
	s_or_b32 exec_lo, exec_lo, s11
	v_lshrrev_b32_e32 v97, 20, v97
	v_min_i32_e32 v74, 15, v22
	v_cmp_gt_i32_e32 vcc_lo, 16, v22
	v_and_b32_sdwa v20, v20, v41 dst_sel:DWORD dst_unused:UNUSED_PAD src0_sel:BYTE_3 src1_sel:DWORD
	v_lshlrev_b32_e32 v74, 3, v74
	v_cndmask_b32_e32 v97, 7, v97, vcc_lo
	v_and_b32_e32 v74, 0xf8, v74
	v_and_b32_e32 v75, 7, v97
	v_or_b32_e32 v22, v22, v97
	v_or3_b32 v20, v74, v20, v75
	v_cmp_ne_u32_e32 vcc_lo, 0, v22
	v_cndmask_b32_e32 v22, 0, v20, vcc_lo
.LBB0_342:                              ;   in Loop: Header=BB0_267 Depth=3
	s_or_b32 exec_lo, exec_lo, s25
.LBB0_343:                              ;   in Loop: Header=BB0_267 Depth=3
	s_or_b32 exec_lo, exec_lo, s24
	v_cmp_gt_i16_sdwa s24, v54, v40 src0_sel:BYTE_1 src1_sel:DWORD
	s_mov_b32 s11, 0
	s_and_saveexec_b32 s25, s24
	s_xor_b32 s24, exec_lo, s25
	s_cbranch_execnz .LBB0_525
; %bb.344:                              ;   in Loop: Header=BB0_267 Depth=3
	s_or_saveexec_b32 s24, s24
	v_mov_b32_e32 v20, 0x7f800001
	s_xor_b32 exec_lo, exec_lo, s24
	s_cbranch_execnz .LBB0_528
.LBB0_345:                              ;   in Loop: Header=BB0_267 Depth=3
	s_or_b32 exec_lo, exec_lo, s24
	s_and_saveexec_b32 s24, s11
	s_cbranch_execz .LBB0_347
.LBB0_346:                              ;   in Loop: Header=BB0_267 Depth=3
	v_and_b32_sdwa v20, v42, v54 dst_sel:DWORD dst_unused:UNUSED_PAD src0_sel:DWORD src1_sel:BYTE_1
	v_and_b32_e32 v97, 7, v20
	v_bfe_u32 v76, v20, 3, 4
	v_ffbh_u32_e32 v74, v97
	v_cmp_eq_u32_e32 vcc_lo, 0, v76
	v_min_u32_e32 v74, 32, v74
	v_subrev_nc_u32_e32 v75, 28, v74
	v_sub_nc_u32_e32 v74, 29, v74
	v_lshlrev_b32_e32 v20, v75, v20
	v_lshlrev_b32_sdwa v75, v43, v54 dst_sel:DWORD dst_unused:UNUSED_PAD src0_sel:DWORD src1_sel:BYTE_1
	v_cndmask_b32_e32 v74, v76, v74, vcc_lo
	v_and_b32_e32 v20, 7, v20
	v_lshl_add_u32 v74, v74, 23, 0x3b800000
	v_cndmask_b32_e32 v20, v97, v20, vcc_lo
	v_and_b32_e32 v97, 0x80000000, v75
	v_lshlrev_b32_e32 v20, 20, v20
	v_or3_b32 v20, v97, v74, v20
.LBB0_347:                              ;   in Loop: Header=BB0_267 Depth=3
	s_or_b32 exec_lo, exec_lo, s24
	v_mul_f32_e32 v20, v0, v20
	v_and_b32_e32 v97, 0x7f800000, v20
	v_cmp_ne_u32_e32 vcc_lo, 0x7f800000, v97
	v_mov_b32_e32 v97, 0x8000
	s_and_saveexec_b32 s24, vcc_lo
	s_cbranch_execz .LBB0_355
; %bb.348:                              ;   in Loop: Header=BB0_267 Depth=3
	v_mov_b32_e32 v97, 0
	s_mov_b32 s25, exec_lo
	v_cmpx_ne_u32_e32 0, v20
	s_cbranch_execz .LBB0_354
; %bb.349:                              ;   in Loop: Header=BB0_267 Depth=3
	v_bfe_u32 v97, v20, 23, 8
	v_and_b32_e32 v74, 0x7fffff, v20
	v_sub_nc_u32_e32 v75, 0x78, v97
	v_cmp_gt_u32_e32 vcc_lo, 0x79, v97
	v_or_b32_e32 v76, 0x800000, v74
	v_cndmask_b32_e32 v75, 0, v75, vcc_lo
	v_cmp_eq_u32_e32 vcc_lo, 0, v97
	v_add_nc_u32_e32 v97, 0xffffff89, v97
	v_cndmask_b32_e64 v75, v75, 0x77, vcc_lo
	v_cndmask_b32_e32 v74, v76, v74, vcc_lo
	v_cndmask_b32_e64 v97, v97, 0xffffff8a, vcc_lo
	v_lshl_add_u32 v76, 0x100000, v75, -1
	v_lshrrev_b32_e32 v77, v75, v74
	v_lshlrev_b32_e64 v79, v75, 0x80000
	v_add_nc_u32_e32 v75, v75, v97
	v_and_b32_e32 v74, v76, v74
	v_bfe_u32 v78, v77, 20, 1
	v_cmp_eq_u32_e64 s11, v74, v79
	v_add_nc_u32_e32 v76, -1, v78
	v_cndmask_b32_e64 v74, 0, v76, s11
	v_lshrrev_b32_e32 v76, 23, v77
	s_mov_b32 s11, exec_lo
	v_add_nc_u32_e32 v74, v74, v77
	v_xor_b32_e32 v76, 1, v76
	v_and_b32_e32 v97, 0xfffff, v74
	v_add_nc_u32_e32 v74, v97, v77
                                        ; implicit-def: $vgpr97
	v_cmpx_ne_u32_e64 v75, v76
	s_xor_b32 s11, exec_lo, s11
; %bb.350:                              ;   in Loop: Header=BB0_267 Depth=3
	v_cmp_lt_u32_e32 vcc_lo, 0xffffff, v74
	v_sub_nc_u32_e32 v97, v75, v76
	v_cndmask_b32_e64 v75, 0, 1, vcc_lo
	v_add_co_ci_u32_e64 v97, null, 0, v97, vcc_lo
	v_lshrrev_b32_e32 v74, v75, v74
; %bb.351:                              ;   in Loop: Header=BB0_267 Depth=3
	s_andn2_saveexec_b32 s11, s11
; %bb.352:                              ;   in Loop: Header=BB0_267 Depth=3
	v_bfe_u32 v97, v74, 23, 1
; %bb.353:                              ;   in Loop: Header=BB0_267 Depth=3
	s_or_b32 exec_lo, exec_lo, s11
	v_lshrrev_b32_e32 v74, 20, v74
	v_min_i32_e32 v75, 15, v97
	v_cmp_gt_i32_e32 vcc_lo, 16, v97
	v_and_b32_sdwa v20, v20, v41 dst_sel:DWORD dst_unused:UNUSED_PAD src0_sel:BYTE_3 src1_sel:DWORD
	v_lshlrev_b32_e32 v75, 3, v75
	v_cndmask_b32_e32 v74, 7, v74, vcc_lo
	v_and_b32_e32 v75, 0xf8, v75
	v_and_b32_e32 v76, 7, v74
	v_or_b32_e32 v97, v97, v74
	v_or3_b32 v20, v20, v75, v76
	v_cmp_ne_u32_e32 vcc_lo, 0, v97
	v_lshlrev_b32_e32 v20, 8, v20
	v_cndmask_b32_e32 v97, 0, v20, vcc_lo
.LBB0_354:                              ;   in Loop: Header=BB0_267 Depth=3
	s_or_b32 exec_lo, exec_lo, s25
.LBB0_355:                              ;   in Loop: Header=BB0_267 Depth=3
	s_or_b32 exec_lo, exec_lo, s24
	v_and_b32_sdwa v74, v54, v44 dst_sel:DWORD dst_unused:UNUSED_PAD src0_sel:WORD_1 src1_sel:DWORD
	s_mov_b32 s11, 0
	s_mov_b32 s24, exec_lo
	v_cmpx_lt_i16_e32 0x7f, v74
	s_xor_b32 s24, exec_lo, s24
	s_cbranch_execnz .LBB0_529
; %bb.356:                              ;   in Loop: Header=BB0_267 Depth=3
	s_or_saveexec_b32 s24, s24
	v_mov_b32_e32 v20, 0x7f800001
	s_xor_b32 exec_lo, exec_lo, s24
	s_cbranch_execnz .LBB0_532
.LBB0_357:                              ;   in Loop: Header=BB0_267 Depth=3
	s_or_b32 exec_lo, exec_lo, s24
	s_and_saveexec_b32 s24, s11
	s_cbranch_execz .LBB0_359
.LBB0_358:                              ;   in Loop: Header=BB0_267 Depth=3
	v_bfe_u32 v20, v54, 16, 3
	v_bfe_u32 v76, v54, 19, 4
	v_lshlrev_b32_e32 v77, 8, v54
	v_ffbh_u32_e32 v74, v20
	v_cmp_eq_u32_e32 vcc_lo, 0, v76
	v_min_u32_e32 v74, 32, v74
	v_subrev_nc_u32_e32 v75, 28, v74
	v_sub_nc_u32_e32 v74, 29, v74
	v_lshlrev_b32_sdwa v75, v75, v54 dst_sel:DWORD dst_unused:UNUSED_PAD src0_sel:DWORD src1_sel:WORD_1
	v_cndmask_b32_e32 v74, v76, v74, vcc_lo
	v_and_b32_e32 v75, 7, v75
	v_lshl_add_u32 v74, v74, 23, 0x3b800000
	v_cndmask_b32_e32 v20, v20, v75, vcc_lo
	v_and_b32_e32 v75, 0x80000000, v77
	v_lshlrev_b32_e32 v20, 20, v20
	v_or3_b32 v20, v75, v74, v20
.LBB0_359:                              ;   in Loop: Header=BB0_267 Depth=3
	s_or_b32 exec_lo, exec_lo, s24
	v_mul_f32_e32 v74, v0, v20
	v_and_b32_e32 v20, 0x7f800000, v74
	v_cmp_ne_u32_e32 vcc_lo, 0x7f800000, v20
	v_mov_b32_e32 v20, 0x80
	s_and_saveexec_b32 s24, vcc_lo
	s_cbranch_execz .LBB0_367
; %bb.360:                              ;   in Loop: Header=BB0_267 Depth=3
	v_mov_b32_e32 v20, 0
	s_mov_b32 s25, exec_lo
	v_cmpx_ne_u32_e32 0, v74
	s_cbranch_execz .LBB0_366
; %bb.361:                              ;   in Loop: Header=BB0_267 Depth=3
	v_bfe_u32 v20, v74, 23, 8
	v_and_b32_e32 v75, 0x7fffff, v74
	v_sub_nc_u32_e32 v76, 0x78, v20
	v_cmp_gt_u32_e32 vcc_lo, 0x79, v20
	v_or_b32_e32 v77, 0x800000, v75
	v_cndmask_b32_e32 v76, 0, v76, vcc_lo
	v_cmp_eq_u32_e32 vcc_lo, 0, v20
	v_add_nc_u32_e32 v20, 0xffffff89, v20
	v_cndmask_b32_e64 v76, v76, 0x77, vcc_lo
	v_cndmask_b32_e32 v75, v77, v75, vcc_lo
	v_cndmask_b32_e64 v20, v20, 0xffffff8a, vcc_lo
	v_lshl_add_u32 v77, 0x100000, v76, -1
	v_lshrrev_b32_e32 v78, v76, v75
	v_lshlrev_b32_e64 v88, v76, 0x80000
	v_add_nc_u32_e32 v76, v76, v20
	v_and_b32_e32 v75, v77, v75
	v_bfe_u32 v79, v78, 20, 1
	v_cmp_eq_u32_e64 s11, v75, v88
	v_add_nc_u32_e32 v77, -1, v79
	v_cndmask_b32_e64 v75, 0, v77, s11
	v_lshrrev_b32_e32 v77, 23, v78
	s_mov_b32 s11, exec_lo
	v_add_nc_u32_e32 v75, v75, v78
	v_xor_b32_e32 v77, 1, v77
	v_and_b32_e32 v20, 0xfffff, v75
	v_add_nc_u32_e32 v75, v20, v78
                                        ; implicit-def: $vgpr20
	v_cmpx_ne_u32_e64 v76, v77
	s_xor_b32 s11, exec_lo, s11
; %bb.362:                              ;   in Loop: Header=BB0_267 Depth=3
	v_cmp_lt_u32_e32 vcc_lo, 0xffffff, v75
	v_sub_nc_u32_e32 v20, v76, v77
	v_cndmask_b32_e64 v76, 0, 1, vcc_lo
	v_add_co_ci_u32_e64 v20, null, 0, v20, vcc_lo
	v_lshrrev_b32_e32 v75, v76, v75
; %bb.363:                              ;   in Loop: Header=BB0_267 Depth=3
	s_andn2_saveexec_b32 s11, s11
; %bb.364:                              ;   in Loop: Header=BB0_267 Depth=3
	v_bfe_u32 v20, v75, 23, 1
; %bb.365:                              ;   in Loop: Header=BB0_267 Depth=3
	s_or_b32 exec_lo, exec_lo, s11
	v_lshrrev_b32_e32 v75, 20, v75
	v_min_i32_e32 v76, 15, v20
	v_cmp_gt_i32_e32 vcc_lo, 16, v20
	v_and_b32_sdwa v74, v74, v41 dst_sel:DWORD dst_unused:UNUSED_PAD src0_sel:BYTE_3 src1_sel:DWORD
	v_lshlrev_b32_e32 v76, 3, v76
	v_cndmask_b32_e32 v75, 7, v75, vcc_lo
	v_and_b32_e32 v76, 0xf8, v76
	v_and_b32_e32 v77, 7, v75
	v_or_b32_e32 v20, v20, v75
	v_or3_b32 v74, v76, v74, v77
	v_cmp_ne_u32_e32 vcc_lo, 0, v20
	v_cndmask_b32_e32 v20, 0, v74, vcc_lo
.LBB0_366:                              ;   in Loop: Header=BB0_267 Depth=3
	s_or_b32 exec_lo, exec_lo, s25
.LBB0_367:                              ;   in Loop: Header=BB0_267 Depth=3
	s_or_b32 exec_lo, exec_lo, s24
	v_cmp_gt_i16_sdwa s24, v54, v40 src0_sel:BYTE_3 src1_sel:DWORD
	s_mov_b32 s11, 0
	s_and_saveexec_b32 s25, s24
	s_xor_b32 s24, exec_lo, s25
	s_cbranch_execnz .LBB0_533
; %bb.368:                              ;   in Loop: Header=BB0_267 Depth=3
	s_or_saveexec_b32 s24, s24
	v_mov_b32_e32 v74, 0x7f800001
	s_xor_b32 exec_lo, exec_lo, s24
	s_cbranch_execnz .LBB0_536
.LBB0_369:                              ;   in Loop: Header=BB0_267 Depth=3
	s_or_b32 exec_lo, exec_lo, s24
	s_and_saveexec_b32 s24, s11
	s_cbranch_execz .LBB0_371
.LBB0_370:                              ;   in Loop: Header=BB0_267 Depth=3
	v_bfe_u32 v74, v54, 24, 3
	v_bfe_u32 v77, v54, 27, 4
	v_ffbh_u32_e32 v75, v74
	v_cmp_eq_u32_e32 vcc_lo, 0, v77
	v_min_u32_e32 v75, 32, v75
	v_subrev_nc_u32_e32 v76, 28, v75
	v_sub_nc_u32_e32 v75, 29, v75
	v_lshlrev_b32_sdwa v76, v76, v54 dst_sel:DWORD dst_unused:UNUSED_PAD src0_sel:DWORD src1_sel:BYTE_3
	v_cndmask_b32_e32 v75, v77, v75, vcc_lo
	v_and_b32_e32 v54, 0x80000000, v54
	v_and_b32_e32 v76, 7, v76
	v_lshl_add_u32 v75, v75, 23, 0x3b800000
	v_cndmask_b32_e32 v74, v74, v76, vcc_lo
	v_lshlrev_b32_e32 v74, 20, v74
	v_or3_b32 v74, v54, v75, v74
.LBB0_371:                              ;   in Loop: Header=BB0_267 Depth=3
	s_or_b32 exec_lo, exec_lo, s24
	v_mul_f32_e32 v74, v0, v74
	v_and_b32_e32 v54, 0x7f800000, v74
	v_cmp_ne_u32_e32 vcc_lo, 0x7f800000, v54
	v_mov_b32_e32 v54, 0x8000
	s_and_saveexec_b32 s24, vcc_lo
	s_cbranch_execz .LBB0_379
; %bb.372:                              ;   in Loop: Header=BB0_267 Depth=3
	v_mov_b32_e32 v54, 0
	s_mov_b32 s25, exec_lo
	v_cmpx_ne_u32_e32 0, v74
	s_cbranch_execz .LBB0_378
; %bb.373:                              ;   in Loop: Header=BB0_267 Depth=3
	v_bfe_u32 v54, v74, 23, 8
	v_and_b32_e32 v75, 0x7fffff, v74
	v_sub_nc_u32_e32 v76, 0x78, v54
	v_cmp_gt_u32_e32 vcc_lo, 0x79, v54
	v_or_b32_e32 v77, 0x800000, v75
	v_cndmask_b32_e32 v76, 0, v76, vcc_lo
	v_cmp_eq_u32_e32 vcc_lo, 0, v54
	v_add_nc_u32_e32 v54, 0xffffff89, v54
	v_cndmask_b32_e64 v76, v76, 0x77, vcc_lo
	v_cndmask_b32_e32 v75, v77, v75, vcc_lo
	v_cndmask_b32_e64 v54, v54, 0xffffff8a, vcc_lo
	v_lshl_add_u32 v77, 0x100000, v76, -1
	v_lshrrev_b32_e32 v78, v76, v75
	v_lshlrev_b32_e64 v88, v76, 0x80000
	v_add_nc_u32_e32 v76, v76, v54
	v_and_b32_e32 v75, v77, v75
	v_bfe_u32 v79, v78, 20, 1
	v_cmp_eq_u32_e64 s11, v75, v88
	v_add_nc_u32_e32 v77, -1, v79
	v_cndmask_b32_e64 v75, 0, v77, s11
	v_lshrrev_b32_e32 v77, 23, v78
	s_mov_b32 s11, exec_lo
	v_add_nc_u32_e32 v75, v75, v78
	v_xor_b32_e32 v77, 1, v77
	v_and_b32_e32 v54, 0xfffff, v75
	v_add_nc_u32_e32 v75, v54, v78
                                        ; implicit-def: $vgpr54
	v_cmpx_ne_u32_e64 v76, v77
	s_xor_b32 s11, exec_lo, s11
; %bb.374:                              ;   in Loop: Header=BB0_267 Depth=3
	v_cmp_lt_u32_e32 vcc_lo, 0xffffff, v75
	v_sub_nc_u32_e32 v54, v76, v77
	v_cndmask_b32_e64 v76, 0, 1, vcc_lo
	v_add_co_ci_u32_e64 v54, null, 0, v54, vcc_lo
	v_lshrrev_b32_e32 v75, v76, v75
; %bb.375:                              ;   in Loop: Header=BB0_267 Depth=3
	s_andn2_saveexec_b32 s11, s11
; %bb.376:                              ;   in Loop: Header=BB0_267 Depth=3
	v_bfe_u32 v54, v75, 23, 1
; %bb.377:                              ;   in Loop: Header=BB0_267 Depth=3
	s_or_b32 exec_lo, exec_lo, s11
	v_lshrrev_b32_e32 v75, 20, v75
	v_min_i32_e32 v76, 15, v54
	v_cmp_gt_i32_e32 vcc_lo, 16, v54
	v_and_b32_sdwa v74, v74, v41 dst_sel:DWORD dst_unused:UNUSED_PAD src0_sel:BYTE_3 src1_sel:DWORD
	v_lshlrev_b32_e32 v76, 3, v76
	v_cndmask_b32_e32 v75, 7, v75, vcc_lo
	v_and_b32_e32 v76, 0xf8, v76
	v_and_b32_e32 v77, 7, v75
	v_or_b32_e32 v54, v54, v75
	v_or3_b32 v74, v74, v76, v77
	v_cmp_ne_u32_e32 vcc_lo, 0, v54
	v_lshlrev_b32_e32 v74, 8, v74
	v_cndmask_b32_e32 v54, 0, v74, vcc_lo
.LBB0_378:                              ;   in Loop: Header=BB0_267 Depth=3
	s_or_b32 exec_lo, exec_lo, s25
.LBB0_379:                              ;   in Loop: Header=BB0_267 Depth=3
	s_or_b32 exec_lo, exec_lo, s24
	v_cmp_gt_i16_sdwa s24, v19, v40 src0_sel:BYTE_0 src1_sel:DWORD
	s_mov_b32 s11, 0
	s_and_saveexec_b32 s25, s24
	s_xor_b32 s24, exec_lo, s25
	s_cbranch_execnz .LBB0_537
; %bb.380:                              ;   in Loop: Header=BB0_267 Depth=3
	s_or_saveexec_b32 s24, s24
	v_mov_b32_e32 v75, 0x7f800001
	s_xor_b32 exec_lo, exec_lo, s24
	s_cbranch_execnz .LBB0_540
.LBB0_381:                              ;   in Loop: Header=BB0_267 Depth=3
	s_or_b32 exec_lo, exec_lo, s24
	s_and_saveexec_b32 s24, s11
	s_cbranch_execz .LBB0_383
.LBB0_382:                              ;   in Loop: Header=BB0_267 Depth=3
	v_and_b32_e32 v74, 7, v19
	v_bfe_u32 v77, v19, 3, 4
	v_lshlrev_b32_e32 v78, 24, v19
	v_ffbh_u32_e32 v75, v74
	v_cmp_eq_u32_e32 vcc_lo, 0, v77
	v_min_u32_e32 v75, 32, v75
	v_subrev_nc_u32_e32 v76, 28, v75
	v_sub_nc_u32_e32 v75, 29, v75
	v_lshlrev_b32_e32 v76, v76, v19
	v_cndmask_b32_e32 v75, v77, v75, vcc_lo
	v_and_b32_e32 v76, 7, v76
	v_lshl_add_u32 v75, v75, 23, 0x3b800000
	v_cndmask_b32_e32 v74, v74, v76, vcc_lo
	v_and_b32_e32 v76, 0x80000000, v78
	v_lshlrev_b32_e32 v74, 20, v74
	v_or3_b32 v75, v76, v75, v74
.LBB0_383:                              ;   in Loop: Header=BB0_267 Depth=3
	s_or_b32 exec_lo, exec_lo, s24
	v_or_b32_e32 v74, v83, v17
	s_mov_b32 s11, 0
	v_cmp_gt_i16_sdwa s24, v74, v40 src0_sel:BYTE_0 src1_sel:DWORD
	s_and_saveexec_b32 s25, s24
	s_xor_b32 s24, exec_lo, s25
	s_cbranch_execnz .LBB0_541
; %bb.384:                              ;   in Loop: Header=BB0_267 Depth=3
	s_or_saveexec_b32 s24, s24
	v_mov_b32_e32 v17, 0x7f800001
	s_xor_b32 exec_lo, exec_lo, s24
	s_cbranch_execnz .LBB0_544
.LBB0_385:                              ;   in Loop: Header=BB0_267 Depth=3
	s_or_b32 exec_lo, exec_lo, s24
	s_and_saveexec_b32 s24, s11
	s_cbranch_execz .LBB0_387
.LBB0_386:                              ;   in Loop: Header=BB0_267 Depth=3
	v_and_b32_e32 v17, 7, v74
	v_bfe_u32 v77, v74, 3, 4
	v_lshlrev_b32_e32 v78, 24, v74
	v_ffbh_u32_e32 v83, v17
	v_cmp_eq_u32_e32 vcc_lo, 0, v77
	v_min_u32_e32 v83, 32, v83
	v_subrev_nc_u32_e32 v76, 28, v83
	v_sub_nc_u32_e32 v83, 29, v83
	v_lshlrev_b32_e32 v76, v76, v74
	v_cndmask_b32_e32 v83, v77, v83, vcc_lo
	v_and_b32_e32 v76, 7, v76
	v_lshl_add_u32 v83, v83, 23, 0x3b800000
	v_cndmask_b32_e32 v17, v17, v76, vcc_lo
	v_and_b32_e32 v76, 0x80000000, v78
	v_lshlrev_b32_e32 v17, 20, v17
	v_or3_b32 v17, v76, v83, v17
.LBB0_387:                              ;   in Loop: Header=BB0_267 Depth=3
	s_or_b32 exec_lo, exec_lo, s24
	v_add_f32_e32 v83, v75, v17
	v_and_b32_e32 v17, 0x7f800000, v83
	v_cmp_ne_u32_e32 vcc_lo, 0x7f800000, v17
	v_mov_b32_e32 v17, 0x80
	s_and_saveexec_b32 s24, vcc_lo
	s_cbranch_execz .LBB0_395
; %bb.388:                              ;   in Loop: Header=BB0_267 Depth=3
	v_mov_b32_e32 v17, 0
	s_mov_b32 s25, exec_lo
	v_cmpx_ne_u32_e32 0, v83
	s_cbranch_execz .LBB0_394
; %bb.389:                              ;   in Loop: Header=BB0_267 Depth=3
	v_bfe_u32 v17, v83, 23, 8
	v_and_b32_e32 v75, 0x7fffff, v83
	v_sub_nc_u32_e32 v76, 0x78, v17
	v_cmp_gt_u32_e32 vcc_lo, 0x79, v17
	v_or_b32_e32 v77, 0x800000, v75
	v_cndmask_b32_e32 v76, 0, v76, vcc_lo
	v_cmp_eq_u32_e32 vcc_lo, 0, v17
	v_add_nc_u32_e32 v17, 0xffffff89, v17
	v_cndmask_b32_e64 v76, v76, 0x77, vcc_lo
	v_cndmask_b32_e32 v75, v77, v75, vcc_lo
	v_cndmask_b32_e64 v17, v17, 0xffffff8a, vcc_lo
	v_lshl_add_u32 v77, 0x100000, v76, -1
	v_lshrrev_b32_e32 v78, v76, v75
	v_lshlrev_b32_e64 v88, v76, 0x80000
	v_add_nc_u32_e32 v76, v76, v17
	v_and_b32_e32 v75, v77, v75
	v_bfe_u32 v79, v78, 20, 1
	v_cmp_eq_u32_e64 s11, v75, v88
	v_add_nc_u32_e32 v77, -1, v79
	v_cndmask_b32_e64 v75, 0, v77, s11
	v_lshrrev_b32_e32 v77, 23, v78
	s_mov_b32 s11, exec_lo
	v_add_nc_u32_e32 v75, v75, v78
	v_xor_b32_e32 v77, 1, v77
	v_and_b32_e32 v17, 0xfffff, v75
	v_add_nc_u32_e32 v75, v17, v78
                                        ; implicit-def: $vgpr17
	v_cmpx_ne_u32_e64 v76, v77
	s_xor_b32 s11, exec_lo, s11
; %bb.390:                              ;   in Loop: Header=BB0_267 Depth=3
	v_cmp_lt_u32_e32 vcc_lo, 0xffffff, v75
	v_sub_nc_u32_e32 v17, v76, v77
	v_cndmask_b32_e64 v76, 0, 1, vcc_lo
	v_add_co_ci_u32_e64 v17, null, 0, v17, vcc_lo
	v_lshrrev_b32_e32 v75, v76, v75
; %bb.391:                              ;   in Loop: Header=BB0_267 Depth=3
	s_andn2_saveexec_b32 s11, s11
; %bb.392:                              ;   in Loop: Header=BB0_267 Depth=3
	v_bfe_u32 v17, v75, 23, 1
; %bb.393:                              ;   in Loop: Header=BB0_267 Depth=3
	s_or_b32 exec_lo, exec_lo, s11
	v_lshrrev_b32_e32 v75, 20, v75
	v_min_i32_e32 v76, 15, v17
	v_cmp_gt_i32_e32 vcc_lo, 16, v17
	v_and_b32_sdwa v83, v83, v41 dst_sel:DWORD dst_unused:UNUSED_PAD src0_sel:BYTE_3 src1_sel:DWORD
	v_lshlrev_b32_e32 v76, 3, v76
	v_cndmask_b32_e32 v75, 7, v75, vcc_lo
	v_and_b32_e32 v76, 0xf8, v76
	v_and_b32_e32 v77, 7, v75
	v_or_b32_e32 v17, v17, v75
	v_or3_b32 v83, v76, v83, v77
	v_cmp_ne_u32_e32 vcc_lo, 0, v17
	v_cndmask_b32_e32 v17, 0, v83, vcc_lo
.LBB0_394:                              ;   in Loop: Header=BB0_267 Depth=3
	s_or_b32 exec_lo, exec_lo, s25
.LBB0_395:                              ;   in Loop: Header=BB0_267 Depth=3
	s_or_b32 exec_lo, exec_lo, s24
	v_cmp_gt_i16_sdwa s24, v19, v40 src0_sel:BYTE_1 src1_sel:DWORD
	s_mov_b32 s11, 0
	s_and_saveexec_b32 s25, s24
	s_xor_b32 s24, exec_lo, s25
	s_cbranch_execnz .LBB0_545
; %bb.396:                              ;   in Loop: Header=BB0_267 Depth=3
	s_or_saveexec_b32 s24, s24
	v_mov_b32_e32 v83, 0x7f800001
	s_xor_b32 exec_lo, exec_lo, s24
	s_cbranch_execnz .LBB0_548
.LBB0_397:                              ;   in Loop: Header=BB0_267 Depth=3
	s_or_b32 exec_lo, exec_lo, s24
	s_and_saveexec_b32 s24, s11
	s_cbranch_execz .LBB0_399
.LBB0_398:                              ;   in Loop: Header=BB0_267 Depth=3
	v_and_b32_sdwa v83, v42, v19 dst_sel:DWORD dst_unused:UNUSED_PAD src0_sel:DWORD src1_sel:BYTE_1
	v_and_b32_e32 v75, 7, v83
	v_bfe_u32 v78, v83, 3, 4
	v_ffbh_u32_e32 v76, v75
	v_cmp_eq_u32_e32 vcc_lo, 0, v78
	v_min_u32_e32 v76, 32, v76
	v_subrev_nc_u32_e32 v77, 28, v76
	v_sub_nc_u32_e32 v76, 29, v76
	v_lshlrev_b32_e32 v83, v77, v83
	v_lshlrev_b32_sdwa v77, v43, v19 dst_sel:DWORD dst_unused:UNUSED_PAD src0_sel:DWORD src1_sel:BYTE_1
	v_cndmask_b32_e32 v76, v78, v76, vcc_lo
	v_and_b32_e32 v83, 7, v83
	v_lshl_add_u32 v76, v76, 23, 0x3b800000
	v_cndmask_b32_e32 v83, v75, v83, vcc_lo
	v_and_b32_e32 v75, 0x80000000, v77
	v_lshlrev_b32_e32 v83, 20, v83
	v_or3_b32 v83, v75, v76, v83
.LBB0_399:                              ;   in Loop: Header=BB0_267 Depth=3
	s_or_b32 exec_lo, exec_lo, s24
	v_cmp_gt_i16_sdwa s24, v74, v40 src0_sel:BYTE_1 src1_sel:DWORD
	s_mov_b32 s11, 0
	s_and_saveexec_b32 s25, s24
	s_xor_b32 s24, exec_lo, s25
	s_cbranch_execnz .LBB0_549
; %bb.400:                              ;   in Loop: Header=BB0_267 Depth=3
	s_or_saveexec_b32 s24, s24
	v_mov_b32_e32 v75, 0x7f800001
	s_xor_b32 exec_lo, exec_lo, s24
	s_cbranch_execnz .LBB0_552
.LBB0_401:                              ;   in Loop: Header=BB0_267 Depth=3
	s_or_b32 exec_lo, exec_lo, s24
	s_and_saveexec_b32 s24, s11
	s_cbranch_execz .LBB0_403
.LBB0_402:                              ;   in Loop: Header=BB0_267 Depth=3
	v_and_b32_sdwa v75, v42, v74 dst_sel:DWORD dst_unused:UNUSED_PAD src0_sel:DWORD src1_sel:BYTE_1
	v_and_b32_e32 v76, 7, v75
	v_bfe_u32 v79, v75, 3, 4
	v_ffbh_u32_e32 v77, v76
	v_cmp_eq_u32_e32 vcc_lo, 0, v79
	v_min_u32_e32 v77, 32, v77
	v_subrev_nc_u32_e32 v78, 28, v77
	v_sub_nc_u32_e32 v77, 29, v77
	v_lshlrev_b32_e32 v75, v78, v75
	v_lshlrev_b32_sdwa v78, v43, v74 dst_sel:DWORD dst_unused:UNUSED_PAD src0_sel:DWORD src1_sel:BYTE_1
	v_cndmask_b32_e32 v77, v79, v77, vcc_lo
	v_and_b32_e32 v75, 7, v75
	v_lshl_add_u32 v77, v77, 23, 0x3b800000
	v_cndmask_b32_e32 v75, v76, v75, vcc_lo
	v_and_b32_e32 v76, 0x80000000, v78
	v_lshlrev_b32_e32 v75, 20, v75
	v_or3_b32 v75, v76, v77, v75
.LBB0_403:                              ;   in Loop: Header=BB0_267 Depth=3
	s_or_b32 exec_lo, exec_lo, s24
	v_add_f32_e32 v75, v83, v75
	v_and_b32_e32 v83, 0x7f800000, v75
	v_cmp_ne_u32_e32 vcc_lo, 0x7f800000, v83
	v_mov_b32_e32 v83, 0x8000
	s_and_saveexec_b32 s24, vcc_lo
	s_cbranch_execz .LBB0_411
; %bb.404:                              ;   in Loop: Header=BB0_267 Depth=3
	v_mov_b32_e32 v83, 0
	s_mov_b32 s25, exec_lo
	v_cmpx_ne_u32_e32 0, v75
	s_cbranch_execz .LBB0_410
; %bb.405:                              ;   in Loop: Header=BB0_267 Depth=3
	v_bfe_u32 v83, v75, 23, 8
	v_and_b32_e32 v76, 0x7fffff, v75
	v_sub_nc_u32_e32 v77, 0x78, v83
	v_cmp_gt_u32_e32 vcc_lo, 0x79, v83
	v_or_b32_e32 v78, 0x800000, v76
	v_cndmask_b32_e32 v77, 0, v77, vcc_lo
	v_cmp_eq_u32_e32 vcc_lo, 0, v83
	v_add_nc_u32_e32 v83, 0xffffff89, v83
	v_cndmask_b32_e64 v77, v77, 0x77, vcc_lo
	v_cndmask_b32_e32 v76, v78, v76, vcc_lo
	v_cndmask_b32_e64 v83, v83, 0xffffff8a, vcc_lo
	v_lshl_add_u32 v78, 0x100000, v77, -1
	v_lshrrev_b32_e32 v79, v77, v76
	v_lshlrev_b32_e64 v89, v77, 0x80000
	v_add_nc_u32_e32 v77, v77, v83
	v_and_b32_e32 v76, v78, v76
	v_bfe_u32 v88, v79, 20, 1
	v_cmp_eq_u32_e64 s11, v76, v89
	v_add_nc_u32_e32 v78, -1, v88
	v_cndmask_b32_e64 v76, 0, v78, s11
	v_lshrrev_b32_e32 v78, 23, v79
	s_mov_b32 s11, exec_lo
	v_add_nc_u32_e32 v76, v76, v79
	v_xor_b32_e32 v78, 1, v78
	v_and_b32_e32 v83, 0xfffff, v76
	v_add_nc_u32_e32 v76, v83, v79
                                        ; implicit-def: $vgpr83
	v_cmpx_ne_u32_e64 v77, v78
	s_xor_b32 s11, exec_lo, s11
; %bb.406:                              ;   in Loop: Header=BB0_267 Depth=3
	v_cmp_lt_u32_e32 vcc_lo, 0xffffff, v76
	v_sub_nc_u32_e32 v83, v77, v78
	v_cndmask_b32_e64 v77, 0, 1, vcc_lo
	v_add_co_ci_u32_e64 v83, null, 0, v83, vcc_lo
	v_lshrrev_b32_e32 v76, v77, v76
; %bb.407:                              ;   in Loop: Header=BB0_267 Depth=3
	s_andn2_saveexec_b32 s11, s11
; %bb.408:                              ;   in Loop: Header=BB0_267 Depth=3
	v_bfe_u32 v83, v76, 23, 1
; %bb.409:                              ;   in Loop: Header=BB0_267 Depth=3
	s_or_b32 exec_lo, exec_lo, s11
	v_lshrrev_b32_e32 v76, 20, v76
	v_min_i32_e32 v77, 15, v83
	v_cmp_gt_i32_e32 vcc_lo, 16, v83
	v_and_b32_sdwa v75, v75, v41 dst_sel:DWORD dst_unused:UNUSED_PAD src0_sel:BYTE_3 src1_sel:DWORD
	v_lshlrev_b32_e32 v77, 3, v77
	v_cndmask_b32_e32 v76, 7, v76, vcc_lo
	v_and_b32_e32 v77, 0xf8, v77
	v_and_b32_e32 v78, 7, v76
	v_or_b32_e32 v83, v83, v76
	v_or3_b32 v75, v75, v77, v78
	v_cmp_ne_u32_e32 vcc_lo, 0, v83
	v_lshlrev_b32_e32 v75, 8, v75
	v_cndmask_b32_e32 v83, 0, v75, vcc_lo
.LBB0_410:                              ;   in Loop: Header=BB0_267 Depth=3
	s_or_b32 exec_lo, exec_lo, s25
.LBB0_411:                              ;   in Loop: Header=BB0_267 Depth=3
	s_or_b32 exec_lo, exec_lo, s24
	v_and_b32_sdwa v76, v19, v44 dst_sel:DWORD dst_unused:UNUSED_PAD src0_sel:WORD_1 src1_sel:DWORD
	s_mov_b32 s11, 0
	s_mov_b32 s24, exec_lo
	v_cmpx_lt_i16_e32 0x7f, v76
	s_xor_b32 s24, exec_lo, s24
	s_cbranch_execnz .LBB0_553
; %bb.412:                              ;   in Loop: Header=BB0_267 Depth=3
	s_or_saveexec_b32 s24, s24
	v_mov_b32_e32 v75, 0x7f800001
	s_xor_b32 exec_lo, exec_lo, s24
	s_cbranch_execnz .LBB0_556
.LBB0_413:                              ;   in Loop: Header=BB0_267 Depth=3
	s_or_b32 exec_lo, exec_lo, s24
	s_and_saveexec_b32 s24, s11
	s_cbranch_execz .LBB0_415
.LBB0_414:                              ;   in Loop: Header=BB0_267 Depth=3
	v_bfe_u32 v75, v19, 16, 3
	v_bfe_u32 v78, v19, 19, 4
	v_lshlrev_b32_e32 v79, 8, v19
	v_ffbh_u32_e32 v76, v75
	v_cmp_eq_u32_e32 vcc_lo, 0, v78
	v_min_u32_e32 v76, 32, v76
	v_subrev_nc_u32_e32 v77, 28, v76
	v_sub_nc_u32_e32 v76, 29, v76
	v_lshlrev_b32_sdwa v77, v77, v19 dst_sel:DWORD dst_unused:UNUSED_PAD src0_sel:DWORD src1_sel:WORD_1
	v_cndmask_b32_e32 v76, v78, v76, vcc_lo
	v_and_b32_e32 v77, 7, v77
	v_lshl_add_u32 v76, v76, 23, 0x3b800000
	v_cndmask_b32_e32 v75, v75, v77, vcc_lo
	v_and_b32_e32 v77, 0x80000000, v79
	v_lshlrev_b32_e32 v75, 20, v75
	v_or3_b32 v75, v77, v76, v75
.LBB0_415:                              ;   in Loop: Header=BB0_267 Depth=3
	s_or_b32 exec_lo, exec_lo, s24
	v_or_b32_e32 v96, v73, v96
	s_mov_b32 s11, 0
	v_cmp_gt_i16_sdwa s24, v96, v40 src0_sel:BYTE_0 src1_sel:DWORD
	s_and_saveexec_b32 s25, s24
	s_xor_b32 s24, exec_lo, s25
	s_cbranch_execnz .LBB0_557
; %bb.416:                              ;   in Loop: Header=BB0_267 Depth=3
	s_or_saveexec_b32 s24, s24
	v_mov_b32_e32 v76, 0x7f800001
	s_xor_b32 exec_lo, exec_lo, s24
	s_cbranch_execnz .LBB0_560
.LBB0_417:                              ;   in Loop: Header=BB0_267 Depth=3
	s_or_b32 exec_lo, exec_lo, s24
	v_lshl_or_b32 v73, v96, 16, v74
	s_and_saveexec_b32 s24, s11
	s_cbranch_execz .LBB0_419
.LBB0_418:                              ;   in Loop: Header=BB0_267 Depth=3
	v_bfe_u32 v96, v73, 16, 3
	v_bfe_u32 v77, v73, 19, 4
	v_lshlrev_b32_e32 v78, 8, v73
	v_ffbh_u32_e32 v74, v96
	v_cmp_eq_u32_e32 vcc_lo, 0, v77
	v_min_u32_e32 v74, 32, v74
	v_subrev_nc_u32_e32 v76, 28, v74
	v_sub_nc_u32_e32 v74, 29, v74
	v_lshlrev_b32_sdwa v76, v76, v73 dst_sel:DWORD dst_unused:UNUSED_PAD src0_sel:DWORD src1_sel:WORD_1
	v_cndmask_b32_e32 v74, v77, v74, vcc_lo
	v_and_b32_e32 v76, 7, v76
	v_lshl_add_u32 v74, v74, 23, 0x3b800000
	v_cndmask_b32_e32 v96, v96, v76, vcc_lo
	v_and_b32_e32 v76, 0x80000000, v78
	v_lshlrev_b32_e32 v96, 20, v96
	v_or3_b32 v76, v76, v74, v96
.LBB0_419:                              ;   in Loop: Header=BB0_267 Depth=3
	s_or_b32 exec_lo, exec_lo, s24
	v_add_f32_e32 v74, v75, v76
	v_and_b32_e32 v96, 0x7f800000, v74
	v_cmp_ne_u32_e32 vcc_lo, 0x7f800000, v96
	v_mov_b32_e32 v96, 0x80
	s_and_saveexec_b32 s24, vcc_lo
	s_cbranch_execz .LBB0_427
; %bb.420:                              ;   in Loop: Header=BB0_267 Depth=3
	v_mov_b32_e32 v96, 0
	s_mov_b32 s25, exec_lo
	v_cmpx_ne_u32_e32 0, v74
	s_cbranch_execz .LBB0_426
; %bb.421:                              ;   in Loop: Header=BB0_267 Depth=3
	v_bfe_u32 v96, v74, 23, 8
	v_and_b32_e32 v75, 0x7fffff, v74
	v_sub_nc_u32_e32 v76, 0x78, v96
	v_cmp_gt_u32_e32 vcc_lo, 0x79, v96
	v_or_b32_e32 v77, 0x800000, v75
	v_cndmask_b32_e32 v76, 0, v76, vcc_lo
	v_cmp_eq_u32_e32 vcc_lo, 0, v96
	v_add_nc_u32_e32 v96, 0xffffff89, v96
	v_cndmask_b32_e64 v76, v76, 0x77, vcc_lo
	v_cndmask_b32_e32 v75, v77, v75, vcc_lo
	v_cndmask_b32_e64 v96, v96, 0xffffff8a, vcc_lo
	v_lshl_add_u32 v77, 0x100000, v76, -1
	v_lshrrev_b32_e32 v78, v76, v75
	v_lshlrev_b32_e64 v88, v76, 0x80000
	v_add_nc_u32_e32 v76, v76, v96
	v_and_b32_e32 v75, v77, v75
	v_bfe_u32 v79, v78, 20, 1
	v_cmp_eq_u32_e64 s11, v75, v88
	v_add_nc_u32_e32 v77, -1, v79
	v_cndmask_b32_e64 v75, 0, v77, s11
	v_lshrrev_b32_e32 v77, 23, v78
	s_mov_b32 s11, exec_lo
	v_add_nc_u32_e32 v75, v75, v78
	v_xor_b32_e32 v77, 1, v77
	v_and_b32_e32 v96, 0xfffff, v75
	v_add_nc_u32_e32 v75, v96, v78
                                        ; implicit-def: $vgpr96
	v_cmpx_ne_u32_e64 v76, v77
	s_xor_b32 s11, exec_lo, s11
; %bb.422:                              ;   in Loop: Header=BB0_267 Depth=3
	v_cmp_lt_u32_e32 vcc_lo, 0xffffff, v75
	v_sub_nc_u32_e32 v96, v76, v77
	v_cndmask_b32_e64 v76, 0, 1, vcc_lo
	v_add_co_ci_u32_e64 v96, null, 0, v96, vcc_lo
	v_lshrrev_b32_e32 v75, v76, v75
; %bb.423:                              ;   in Loop: Header=BB0_267 Depth=3
	s_andn2_saveexec_b32 s11, s11
; %bb.424:                              ;   in Loop: Header=BB0_267 Depth=3
	v_bfe_u32 v96, v75, 23, 1
; %bb.425:                              ;   in Loop: Header=BB0_267 Depth=3
	s_or_b32 exec_lo, exec_lo, s11
	v_lshrrev_b32_e32 v75, 20, v75
	v_min_i32_e32 v76, 15, v96
	v_cmp_gt_i32_e32 vcc_lo, 16, v96
	v_and_b32_sdwa v74, v74, v41 dst_sel:DWORD dst_unused:UNUSED_PAD src0_sel:BYTE_3 src1_sel:DWORD
	v_lshlrev_b32_e32 v76, 3, v76
	v_cndmask_b32_e32 v75, 7, v75, vcc_lo
	v_and_b32_e32 v76, 0xf8, v76
	v_and_b32_e32 v77, 7, v75
	v_or_b32_e32 v96, v96, v75
	v_or3_b32 v74, v76, v74, v77
	v_cmp_ne_u32_e32 vcc_lo, 0, v96
	v_cndmask_b32_e32 v96, 0, v74, vcc_lo
.LBB0_426:                              ;   in Loop: Header=BB0_267 Depth=3
	s_or_b32 exec_lo, exec_lo, s25
.LBB0_427:                              ;   in Loop: Header=BB0_267 Depth=3
	s_or_b32 exec_lo, exec_lo, s24
	v_cmp_gt_i16_sdwa s24, v19, v40 src0_sel:BYTE_3 src1_sel:DWORD
	s_mov_b32 s11, 0
	s_and_saveexec_b32 s25, s24
	s_xor_b32 s24, exec_lo, s25
	s_cbranch_execnz .LBB0_561
; %bb.428:                              ;   in Loop: Header=BB0_267 Depth=3
	s_or_saveexec_b32 s24, s24
	v_mov_b32_e32 v74, 0x7f800001
	s_xor_b32 exec_lo, exec_lo, s24
	s_cbranch_execnz .LBB0_564
.LBB0_429:                              ;   in Loop: Header=BB0_267 Depth=3
	s_or_b32 exec_lo, exec_lo, s24
	s_and_saveexec_b32 s24, s11
	s_cbranch_execz .LBB0_431
.LBB0_430:                              ;   in Loop: Header=BB0_267 Depth=3
	v_bfe_u32 v74, v19, 24, 3
	v_bfe_u32 v77, v19, 27, 4
	v_ffbh_u32_e32 v75, v74
	v_cmp_eq_u32_e32 vcc_lo, 0, v77
	v_min_u32_e32 v75, 32, v75
	v_subrev_nc_u32_e32 v76, 28, v75
	v_sub_nc_u32_e32 v75, 29, v75
	v_lshlrev_b32_sdwa v76, v76, v19 dst_sel:DWORD dst_unused:UNUSED_PAD src0_sel:DWORD src1_sel:BYTE_3
	v_cndmask_b32_e32 v75, v77, v75, vcc_lo
	v_and_b32_e32 v19, 0x80000000, v19
	v_and_b32_e32 v76, 7, v76
	v_lshl_add_u32 v75, v75, 23, 0x3b800000
	v_cndmask_b32_e32 v74, v74, v76, vcc_lo
	v_lshlrev_b32_e32 v74, 20, v74
	v_or3_b32 v74, v19, v75, v74
.LBB0_431:                              ;   in Loop: Header=BB0_267 Depth=3
	s_or_b32 exec_lo, exec_lo, s24
	v_cmp_gt_i16_sdwa s24, v73, v40 src0_sel:BYTE_3 src1_sel:DWORD
	s_mov_b32 s11, 0
	s_and_saveexec_b32 s25, s24
	s_xor_b32 s24, exec_lo, s25
	s_cbranch_execnz .LBB0_565
; %bb.432:                              ;   in Loop: Header=BB0_267 Depth=3
	s_or_saveexec_b32 s24, s24
	v_mov_b32_e32 v19, 0x7f800001
	s_xor_b32 exec_lo, exec_lo, s24
	s_cbranch_execnz .LBB0_568
.LBB0_433:                              ;   in Loop: Header=BB0_267 Depth=3
	s_or_b32 exec_lo, exec_lo, s24
	s_and_saveexec_b32 s24, s11
	s_cbranch_execz .LBB0_435
.LBB0_434:                              ;   in Loop: Header=BB0_267 Depth=3
	v_bfe_u32 v19, v73, 24, 3
	v_bfe_u32 v77, v73, 27, 4
	v_ffbh_u32_e32 v75, v19
	v_cmp_eq_u32_e32 vcc_lo, 0, v77
	v_min_u32_e32 v75, 32, v75
	v_subrev_nc_u32_e32 v76, 28, v75
	v_sub_nc_u32_e32 v75, 29, v75
	v_lshlrev_b32_sdwa v76, v76, v73 dst_sel:DWORD dst_unused:UNUSED_PAD src0_sel:DWORD src1_sel:BYTE_3
	v_cndmask_b32_e32 v75, v77, v75, vcc_lo
	v_and_b32_e32 v73, 0x80000000, v73
	v_and_b32_e32 v76, 7, v76
	v_lshl_add_u32 v75, v75, 23, 0x3b800000
	v_cndmask_b32_e32 v19, v19, v76, vcc_lo
	v_lshlrev_b32_e32 v19, 20, v19
	v_or3_b32 v19, v73, v75, v19
.LBB0_435:                              ;   in Loop: Header=BB0_267 Depth=3
	s_or_b32 exec_lo, exec_lo, s24
	v_add_f32_e32 v73, v74, v19
	v_and_b32_e32 v19, 0x7f800000, v73
	v_cmp_ne_u32_e32 vcc_lo, 0x7f800000, v19
	v_mov_b32_e32 v19, 0x8000
	s_and_saveexec_b32 s24, vcc_lo
	s_cbranch_execz .LBB0_443
; %bb.436:                              ;   in Loop: Header=BB0_267 Depth=3
	v_mov_b32_e32 v19, 0
	s_mov_b32 s25, exec_lo
	v_cmpx_ne_u32_e32 0, v73
	s_cbranch_execz .LBB0_442
; %bb.437:                              ;   in Loop: Header=BB0_267 Depth=3
	v_bfe_u32 v19, v73, 23, 8
	v_and_b32_e32 v74, 0x7fffff, v73
	v_sub_nc_u32_e32 v75, 0x78, v19
	v_cmp_gt_u32_e32 vcc_lo, 0x79, v19
	v_or_b32_e32 v76, 0x800000, v74
	v_cndmask_b32_e32 v75, 0, v75, vcc_lo
	v_cmp_eq_u32_e32 vcc_lo, 0, v19
	v_add_nc_u32_e32 v19, 0xffffff89, v19
	v_cndmask_b32_e64 v75, v75, 0x77, vcc_lo
	v_cndmask_b32_e32 v74, v76, v74, vcc_lo
	v_cndmask_b32_e64 v19, v19, 0xffffff8a, vcc_lo
	v_lshl_add_u32 v76, 0x100000, v75, -1
	v_lshrrev_b32_e32 v77, v75, v74
	v_lshlrev_b32_e64 v79, v75, 0x80000
	v_add_nc_u32_e32 v75, v75, v19
	v_and_b32_e32 v74, v76, v74
	v_bfe_u32 v78, v77, 20, 1
	v_cmp_eq_u32_e64 s11, v74, v79
	v_add_nc_u32_e32 v76, -1, v78
	v_cndmask_b32_e64 v74, 0, v76, s11
	v_lshrrev_b32_e32 v76, 23, v77
	s_mov_b32 s11, exec_lo
	v_add_nc_u32_e32 v74, v74, v77
	v_xor_b32_e32 v76, 1, v76
	v_and_b32_e32 v19, 0xfffff, v74
	v_add_nc_u32_e32 v74, v19, v77
                                        ; implicit-def: $vgpr19
	v_cmpx_ne_u32_e64 v75, v76
	s_xor_b32 s11, exec_lo, s11
; %bb.438:                              ;   in Loop: Header=BB0_267 Depth=3
	v_cmp_lt_u32_e32 vcc_lo, 0xffffff, v74
	v_sub_nc_u32_e32 v19, v75, v76
	v_cndmask_b32_e64 v75, 0, 1, vcc_lo
	v_add_co_ci_u32_e64 v19, null, 0, v19, vcc_lo
	v_lshrrev_b32_e32 v74, v75, v74
; %bb.439:                              ;   in Loop: Header=BB0_267 Depth=3
	s_andn2_saveexec_b32 s11, s11
; %bb.440:                              ;   in Loop: Header=BB0_267 Depth=3
	v_bfe_u32 v19, v74, 23, 1
; %bb.441:                              ;   in Loop: Header=BB0_267 Depth=3
	s_or_b32 exec_lo, exec_lo, s11
	v_lshrrev_b32_e32 v74, 20, v74
	v_min_i32_e32 v75, 15, v19
	v_cmp_gt_i32_e32 vcc_lo, 16, v19
	v_and_b32_sdwa v73, v73, v41 dst_sel:DWORD dst_unused:UNUSED_PAD src0_sel:BYTE_3 src1_sel:DWORD
	v_lshlrev_b32_e32 v75, 3, v75
	v_cndmask_b32_e32 v74, 7, v74, vcc_lo
	v_and_b32_e32 v75, 0xf8, v75
	v_and_b32_e32 v76, 7, v74
	v_or_b32_e32 v19, v19, v74
	v_or3_b32 v73, v73, v75, v76
	v_cmp_ne_u32_e32 vcc_lo, 0, v19
	v_lshlrev_b32_e32 v73, 8, v73
	v_cndmask_b32_e32 v19, 0, v73, vcc_lo
.LBB0_442:                              ;   in Loop: Header=BB0_267 Depth=3
	s_or_b32 exec_lo, exec_lo, s25
.LBB0_443:                              ;   in Loop: Header=BB0_267 Depth=3
	s_or_b32 exec_lo, exec_lo, s24
	v_cmp_gt_i16_sdwa s24, v21, v40 src0_sel:BYTE_0 src1_sel:DWORD
	s_mov_b32 s11, 0
	s_and_saveexec_b32 s25, s24
	s_xor_b32 s24, exec_lo, s25
	s_cbranch_execnz .LBB0_569
; %bb.444:                              ;   in Loop: Header=BB0_267 Depth=3
	s_or_saveexec_b32 s24, s24
	v_mov_b32_e32 v73, 0x7f800001
	s_xor_b32 exec_lo, exec_lo, s24
	s_cbranch_execnz .LBB0_572
.LBB0_445:                              ;   in Loop: Header=BB0_267 Depth=3
	s_or_b32 exec_lo, exec_lo, s24
	s_and_saveexec_b32 s24, s11
	s_cbranch_execz .LBB0_447
.LBB0_446:                              ;   in Loop: Header=BB0_267 Depth=3
	v_and_b32_e32 v73, 7, v21
	v_bfe_u32 v76, v21, 3, 4
	v_lshlrev_b32_e32 v77, 24, v21
	v_ffbh_u32_e32 v74, v73
	v_cmp_eq_u32_e32 vcc_lo, 0, v76
	v_min_u32_e32 v74, 32, v74
	v_subrev_nc_u32_e32 v75, 28, v74
	v_sub_nc_u32_e32 v74, 29, v74
	v_lshlrev_b32_e32 v75, v75, v21
	v_cndmask_b32_e32 v74, v76, v74, vcc_lo
	v_and_b32_e32 v75, 7, v75
	v_lshl_add_u32 v74, v74, 23, 0x3b800000
	v_cndmask_b32_e32 v73, v73, v75, vcc_lo
	v_and_b32_e32 v75, 0x80000000, v77
	v_lshlrev_b32_e32 v73, 20, v73
	v_or3_b32 v73, v75, v74, v73
.LBB0_447:                              ;   in Loop: Header=BB0_267 Depth=3
	s_or_b32 exec_lo, exec_lo, s24
	v_or_b32_e32 v97, v97, v22
	s_mov_b32 s11, 0
	v_cmp_gt_i16_sdwa s24, v97, v40 src0_sel:BYTE_0 src1_sel:DWORD
	s_and_saveexec_b32 s25, s24
	s_xor_b32 s24, exec_lo, s25
	s_cbranch_execnz .LBB0_573
; %bb.448:                              ;   in Loop: Header=BB0_267 Depth=3
	s_or_saveexec_b32 s24, s24
	v_mov_b32_e32 v22, 0x7f800001
	s_xor_b32 exec_lo, exec_lo, s24
	s_cbranch_execnz .LBB0_576
.LBB0_449:                              ;   in Loop: Header=BB0_267 Depth=3
	s_or_b32 exec_lo, exec_lo, s24
	s_and_saveexec_b32 s24, s11
	s_cbranch_execz .LBB0_451
.LBB0_450:                              ;   in Loop: Header=BB0_267 Depth=3
	v_and_b32_e32 v22, 7, v97
	v_bfe_u32 v76, v97, 3, 4
	v_lshlrev_b32_e32 v77, 24, v97
	v_ffbh_u32_e32 v74, v22
	v_cmp_eq_u32_e32 vcc_lo, 0, v76
	v_min_u32_e32 v74, 32, v74
	v_subrev_nc_u32_e32 v75, 28, v74
	v_sub_nc_u32_e32 v74, 29, v74
	v_lshlrev_b32_e32 v75, v75, v97
	v_cndmask_b32_e32 v74, v76, v74, vcc_lo
	v_and_b32_e32 v75, 7, v75
	v_lshl_add_u32 v74, v74, 23, 0x3b800000
	v_cndmask_b32_e32 v22, v22, v75, vcc_lo
	v_and_b32_e32 v75, 0x80000000, v77
	v_lshlrev_b32_e32 v22, 20, v22
	v_or3_b32 v22, v75, v74, v22
.LBB0_451:                              ;   in Loop: Header=BB0_267 Depth=3
	s_or_b32 exec_lo, exec_lo, s24
	v_add_f32_e32 v73, v73, v22
	v_and_b32_e32 v22, 0x7f800000, v73
	v_cmp_ne_u32_e32 vcc_lo, 0x7f800000, v22
	v_mov_b32_e32 v22, 0x80
	s_and_saveexec_b32 s24, vcc_lo
	s_cbranch_execz .LBB0_459
; %bb.452:                              ;   in Loop: Header=BB0_267 Depth=3
	v_mov_b32_e32 v22, 0
	s_mov_b32 s25, exec_lo
	v_cmpx_ne_u32_e32 0, v73
	s_cbranch_execz .LBB0_458
; %bb.453:                              ;   in Loop: Header=BB0_267 Depth=3
	v_bfe_u32 v22, v73, 23, 8
	v_and_b32_e32 v74, 0x7fffff, v73
	v_sub_nc_u32_e32 v75, 0x78, v22
	v_cmp_gt_u32_e32 vcc_lo, 0x79, v22
	v_or_b32_e32 v76, 0x800000, v74
	v_cndmask_b32_e32 v75, 0, v75, vcc_lo
	v_cmp_eq_u32_e32 vcc_lo, 0, v22
	v_add_nc_u32_e32 v22, 0xffffff89, v22
	v_cndmask_b32_e64 v75, v75, 0x77, vcc_lo
	v_cndmask_b32_e32 v74, v76, v74, vcc_lo
	v_cndmask_b32_e64 v22, v22, 0xffffff8a, vcc_lo
	v_lshl_add_u32 v76, 0x100000, v75, -1
	v_lshrrev_b32_e32 v77, v75, v74
	v_lshlrev_b32_e64 v79, v75, 0x80000
	v_add_nc_u32_e32 v75, v75, v22
	v_and_b32_e32 v74, v76, v74
	v_bfe_u32 v78, v77, 20, 1
	v_cmp_eq_u32_e64 s11, v74, v79
	v_add_nc_u32_e32 v76, -1, v78
	v_cndmask_b32_e64 v74, 0, v76, s11
	v_lshrrev_b32_e32 v76, 23, v77
	s_mov_b32 s11, exec_lo
	v_add_nc_u32_e32 v74, v74, v77
	v_xor_b32_e32 v76, 1, v76
	v_and_b32_e32 v22, 0xfffff, v74
	v_add_nc_u32_e32 v74, v22, v77
                                        ; implicit-def: $vgpr22
	v_cmpx_ne_u32_e64 v75, v76
	s_xor_b32 s11, exec_lo, s11
; %bb.454:                              ;   in Loop: Header=BB0_267 Depth=3
	v_cmp_lt_u32_e32 vcc_lo, 0xffffff, v74
	v_sub_nc_u32_e32 v22, v75, v76
	v_cndmask_b32_e64 v75, 0, 1, vcc_lo
	v_add_co_ci_u32_e64 v22, null, 0, v22, vcc_lo
	v_lshrrev_b32_e32 v74, v75, v74
; %bb.455:                              ;   in Loop: Header=BB0_267 Depth=3
	s_andn2_saveexec_b32 s11, s11
; %bb.456:                              ;   in Loop: Header=BB0_267 Depth=3
	v_bfe_u32 v22, v74, 23, 1
; %bb.457:                              ;   in Loop: Header=BB0_267 Depth=3
	s_or_b32 exec_lo, exec_lo, s11
	v_lshrrev_b32_e32 v74, 20, v74
	v_min_i32_e32 v75, 15, v22
	v_cmp_gt_i32_e32 vcc_lo, 16, v22
	v_and_b32_sdwa v73, v73, v41 dst_sel:DWORD dst_unused:UNUSED_PAD src0_sel:BYTE_3 src1_sel:DWORD
	v_lshlrev_b32_e32 v75, 3, v75
	v_cndmask_b32_e32 v74, 7, v74, vcc_lo
	v_and_b32_e32 v75, 0xf8, v75
	v_and_b32_e32 v76, 7, v74
	v_or_b32_e32 v22, v22, v74
	v_or3_b32 v73, v75, v73, v76
	v_cmp_ne_u32_e32 vcc_lo, 0, v22
	v_cndmask_b32_e32 v22, 0, v73, vcc_lo
.LBB0_458:                              ;   in Loop: Header=BB0_267 Depth=3
	s_or_b32 exec_lo, exec_lo, s25
.LBB0_459:                              ;   in Loop: Header=BB0_267 Depth=3
	s_or_b32 exec_lo, exec_lo, s24
	v_cmp_gt_i16_sdwa s24, v21, v40 src0_sel:BYTE_1 src1_sel:DWORD
	s_mov_b32 s11, 0
	s_and_saveexec_b32 s25, s24
	s_xor_b32 s24, exec_lo, s25
	s_cbranch_execnz .LBB0_577
; %bb.460:                              ;   in Loop: Header=BB0_267 Depth=3
	s_or_saveexec_b32 s24, s24
	v_mov_b32_e32 v73, 0x7f800001
	s_xor_b32 exec_lo, exec_lo, s24
	s_cbranch_execnz .LBB0_580
.LBB0_461:                              ;   in Loop: Header=BB0_267 Depth=3
	s_or_b32 exec_lo, exec_lo, s24
	s_and_saveexec_b32 s24, s11
	s_cbranch_execz .LBB0_463
.LBB0_462:                              ;   in Loop: Header=BB0_267 Depth=3
	v_and_b32_sdwa v73, v42, v21 dst_sel:DWORD dst_unused:UNUSED_PAD src0_sel:DWORD src1_sel:BYTE_1
	v_and_b32_e32 v74, 7, v73
	v_bfe_u32 v77, v73, 3, 4
	v_ffbh_u32_e32 v75, v74
	v_cmp_eq_u32_e32 vcc_lo, 0, v77
	v_min_u32_e32 v75, 32, v75
	v_subrev_nc_u32_e32 v76, 28, v75
	v_sub_nc_u32_e32 v75, 29, v75
	v_lshlrev_b32_e32 v73, v76, v73
	v_lshlrev_b32_sdwa v76, v43, v21 dst_sel:DWORD dst_unused:UNUSED_PAD src0_sel:DWORD src1_sel:BYTE_1
	v_cndmask_b32_e32 v75, v77, v75, vcc_lo
	v_and_b32_e32 v73, 7, v73
	v_lshl_add_u32 v75, v75, 23, 0x3b800000
	v_cndmask_b32_e32 v73, v74, v73, vcc_lo
	v_and_b32_e32 v74, 0x80000000, v76
	v_lshlrev_b32_e32 v73, 20, v73
	v_or3_b32 v73, v74, v75, v73
.LBB0_463:                              ;   in Loop: Header=BB0_267 Depth=3
	s_or_b32 exec_lo, exec_lo, s24
	v_cmp_gt_i16_sdwa s24, v97, v40 src0_sel:BYTE_1 src1_sel:DWORD
	s_mov_b32 s11, 0
	s_and_saveexec_b32 s25, s24
	s_xor_b32 s24, exec_lo, s25
	s_cbranch_execnz .LBB0_581
; %bb.464:                              ;   in Loop: Header=BB0_267 Depth=3
	s_or_saveexec_b32 s24, s24
	v_mov_b32_e32 v74, 0x7f800001
	s_xor_b32 exec_lo, exec_lo, s24
	s_cbranch_execnz .LBB0_584
.LBB0_465:                              ;   in Loop: Header=BB0_267 Depth=3
	s_or_b32 exec_lo, exec_lo, s24
	s_and_saveexec_b32 s24, s11
	s_cbranch_execz .LBB0_467
.LBB0_466:                              ;   in Loop: Header=BB0_267 Depth=3
	v_and_b32_sdwa v74, v42, v97 dst_sel:DWORD dst_unused:UNUSED_PAD src0_sel:DWORD src1_sel:BYTE_1
	v_and_b32_e32 v75, 7, v74
	v_bfe_u32 v78, v74, 3, 4
	v_ffbh_u32_e32 v76, v75
	v_cmp_eq_u32_e32 vcc_lo, 0, v78
	v_min_u32_e32 v76, 32, v76
	v_subrev_nc_u32_e32 v77, 28, v76
	v_sub_nc_u32_e32 v76, 29, v76
	v_lshlrev_b32_e32 v74, v77, v74
	v_lshlrev_b32_sdwa v77, v43, v97 dst_sel:DWORD dst_unused:UNUSED_PAD src0_sel:DWORD src1_sel:BYTE_1
	v_cndmask_b32_e32 v76, v78, v76, vcc_lo
	v_and_b32_e32 v74, 7, v74
	v_lshl_add_u32 v76, v76, 23, 0x3b800000
	v_cndmask_b32_e32 v74, v75, v74, vcc_lo
	v_and_b32_e32 v75, 0x80000000, v77
	v_lshlrev_b32_e32 v74, 20, v74
	v_or3_b32 v74, v75, v76, v74
.LBB0_467:                              ;   in Loop: Header=BB0_267 Depth=3
	s_or_b32 exec_lo, exec_lo, s24
	v_add_f32_e32 v74, v73, v74
	v_and_b32_e32 v73, 0x7f800000, v74
	v_cmp_ne_u32_e32 vcc_lo, 0x7f800000, v73
	v_mov_b32_e32 v73, 0x8000
	s_and_saveexec_b32 s24, vcc_lo
	s_cbranch_execz .LBB0_475
; %bb.468:                              ;   in Loop: Header=BB0_267 Depth=3
	v_mov_b32_e32 v73, 0
	s_mov_b32 s25, exec_lo
	v_cmpx_ne_u32_e32 0, v74
	s_cbranch_execz .LBB0_474
; %bb.469:                              ;   in Loop: Header=BB0_267 Depth=3
	v_bfe_u32 v73, v74, 23, 8
	v_and_b32_e32 v75, 0x7fffff, v74
	v_sub_nc_u32_e32 v76, 0x78, v73
	v_cmp_gt_u32_e32 vcc_lo, 0x79, v73
	v_or_b32_e32 v77, 0x800000, v75
	v_cndmask_b32_e32 v76, 0, v76, vcc_lo
	v_cmp_eq_u32_e32 vcc_lo, 0, v73
	v_add_nc_u32_e32 v73, 0xffffff89, v73
	v_cndmask_b32_e64 v76, v76, 0x77, vcc_lo
	v_cndmask_b32_e32 v75, v77, v75, vcc_lo
	v_cndmask_b32_e64 v73, v73, 0xffffff8a, vcc_lo
	v_lshl_add_u32 v77, 0x100000, v76, -1
	v_lshrrev_b32_e32 v78, v76, v75
	v_lshlrev_b32_e64 v88, v76, 0x80000
	v_add_nc_u32_e32 v76, v76, v73
	v_and_b32_e32 v75, v77, v75
	v_bfe_u32 v79, v78, 20, 1
	v_cmp_eq_u32_e64 s11, v75, v88
	v_add_nc_u32_e32 v77, -1, v79
	v_cndmask_b32_e64 v75, 0, v77, s11
	v_lshrrev_b32_e32 v77, 23, v78
	s_mov_b32 s11, exec_lo
	v_add_nc_u32_e32 v75, v75, v78
	v_xor_b32_e32 v77, 1, v77
	v_and_b32_e32 v73, 0xfffff, v75
	v_add_nc_u32_e32 v75, v73, v78
                                        ; implicit-def: $vgpr73
	v_cmpx_ne_u32_e64 v76, v77
	s_xor_b32 s11, exec_lo, s11
; %bb.470:                              ;   in Loop: Header=BB0_267 Depth=3
	v_cmp_lt_u32_e32 vcc_lo, 0xffffff, v75
	v_sub_nc_u32_e32 v73, v76, v77
	v_cndmask_b32_e64 v76, 0, 1, vcc_lo
	v_add_co_ci_u32_e64 v73, null, 0, v73, vcc_lo
	v_lshrrev_b32_e32 v75, v76, v75
; %bb.471:                              ;   in Loop: Header=BB0_267 Depth=3
	s_andn2_saveexec_b32 s11, s11
; %bb.472:                              ;   in Loop: Header=BB0_267 Depth=3
	v_bfe_u32 v73, v75, 23, 1
; %bb.473:                              ;   in Loop: Header=BB0_267 Depth=3
	s_or_b32 exec_lo, exec_lo, s11
	v_lshrrev_b32_e32 v75, 20, v75
	v_min_i32_e32 v76, 15, v73
	v_cmp_gt_i32_e32 vcc_lo, 16, v73
	v_and_b32_sdwa v74, v74, v41 dst_sel:DWORD dst_unused:UNUSED_PAD src0_sel:BYTE_3 src1_sel:DWORD
	v_lshlrev_b32_e32 v76, 3, v76
	v_cndmask_b32_e32 v75, 7, v75, vcc_lo
	v_and_b32_e32 v76, 0xf8, v76
	v_and_b32_e32 v77, 7, v75
	v_or_b32_e32 v73, v73, v75
	v_or3_b32 v74, v74, v76, v77
	v_cmp_ne_u32_e32 vcc_lo, 0, v73
	v_lshlrev_b32_e32 v74, 8, v74
	v_cndmask_b32_e32 v73, 0, v74, vcc_lo
.LBB0_474:                              ;   in Loop: Header=BB0_267 Depth=3
	s_or_b32 exec_lo, exec_lo, s25
.LBB0_475:                              ;   in Loop: Header=BB0_267 Depth=3
	s_or_b32 exec_lo, exec_lo, s24
	v_and_b32_sdwa v75, v21, v44 dst_sel:DWORD dst_unused:UNUSED_PAD src0_sel:WORD_1 src1_sel:DWORD
	s_mov_b32 s11, 0
	s_mov_b32 s24, exec_lo
	v_cmpx_lt_i16_e32 0x7f, v75
	s_xor_b32 s24, exec_lo, s24
	s_cbranch_execnz .LBB0_585
; %bb.476:                              ;   in Loop: Header=BB0_267 Depth=3
	s_or_saveexec_b32 s24, s24
	v_mov_b32_e32 v74, 0x7f800001
	s_xor_b32 exec_lo, exec_lo, s24
	s_cbranch_execnz .LBB0_588
.LBB0_477:                              ;   in Loop: Header=BB0_267 Depth=3
	s_or_b32 exec_lo, exec_lo, s24
	s_and_saveexec_b32 s24, s11
	s_cbranch_execz .LBB0_479
.LBB0_478:                              ;   in Loop: Header=BB0_267 Depth=3
	v_bfe_u32 v74, v21, 16, 3
	v_bfe_u32 v77, v21, 19, 4
	v_lshlrev_b32_e32 v78, 8, v21
	v_ffbh_u32_e32 v75, v74
	v_cmp_eq_u32_e32 vcc_lo, 0, v77
	v_min_u32_e32 v75, 32, v75
	v_subrev_nc_u32_e32 v76, 28, v75
	v_sub_nc_u32_e32 v75, 29, v75
	v_lshlrev_b32_sdwa v76, v76, v21 dst_sel:DWORD dst_unused:UNUSED_PAD src0_sel:DWORD src1_sel:WORD_1
	v_cndmask_b32_e32 v75, v77, v75, vcc_lo
	v_and_b32_e32 v76, 7, v76
	v_lshl_add_u32 v75, v75, 23, 0x3b800000
	v_cndmask_b32_e32 v74, v74, v76, vcc_lo
	v_and_b32_e32 v76, 0x80000000, v78
	v_lshlrev_b32_e32 v74, 20, v74
	v_or3_b32 v74, v76, v75, v74
.LBB0_479:                              ;   in Loop: Header=BB0_267 Depth=3
	s_or_b32 exec_lo, exec_lo, s24
	v_or_b32_e32 v20, v54, v20
	s_mov_b32 s11, 0
	v_cmp_gt_i16_sdwa s24, v20, v40 src0_sel:BYTE_0 src1_sel:DWORD
	s_and_saveexec_b32 s25, s24
	s_xor_b32 s24, exec_lo, s25
	s_cbranch_execnz .LBB0_589
; %bb.480:                              ;   in Loop: Header=BB0_267 Depth=3
	s_or_saveexec_b32 s24, s24
	v_mov_b32_e32 v75, 0x7f800001
	s_xor_b32 exec_lo, exec_lo, s24
	s_cbranch_execnz .LBB0_592
.LBB0_481:                              ;   in Loop: Header=BB0_267 Depth=3
	s_or_b32 exec_lo, exec_lo, s24
	v_lshl_or_b32 v54, v20, 16, v97
	s_and_saveexec_b32 s24, s11
	s_cbranch_execz .LBB0_483
.LBB0_482:                              ;   in Loop: Header=BB0_267 Depth=3
	v_bfe_u32 v20, v54, 16, 3
	v_bfe_u32 v76, v54, 19, 4
	v_lshlrev_b32_e32 v77, 8, v54
	v_ffbh_u32_e32 v97, v20
	v_cmp_eq_u32_e32 vcc_lo, 0, v76
	v_min_u32_e32 v97, 32, v97
	v_subrev_nc_u32_e32 v75, 28, v97
	v_sub_nc_u32_e32 v97, 29, v97
	v_lshlrev_b32_sdwa v75, v75, v54 dst_sel:DWORD dst_unused:UNUSED_PAD src0_sel:DWORD src1_sel:WORD_1
	v_cndmask_b32_e32 v97, v76, v97, vcc_lo
	v_and_b32_e32 v75, 7, v75
	v_lshl_add_u32 v97, v97, 23, 0x3b800000
	v_cndmask_b32_e32 v20, v20, v75, vcc_lo
	v_and_b32_e32 v75, 0x80000000, v77
	v_lshlrev_b32_e32 v20, 20, v20
	v_or3_b32 v75, v75, v97, v20
.LBB0_483:                              ;   in Loop: Header=BB0_267 Depth=3
	s_or_b32 exec_lo, exec_lo, s24
	v_add_f32_e32 v97, v74, v75
	v_and_b32_e32 v20, 0x7f800000, v97
	v_cmp_ne_u32_e32 vcc_lo, 0x7f800000, v20
	v_mov_b32_e32 v20, 0x80
	s_and_saveexec_b32 s24, vcc_lo
	s_cbranch_execz .LBB0_491
; %bb.484:                              ;   in Loop: Header=BB0_267 Depth=3
	v_mov_b32_e32 v20, 0
	s_mov_b32 s25, exec_lo
	v_cmpx_ne_u32_e32 0, v97
	s_cbranch_execz .LBB0_490
; %bb.485:                              ;   in Loop: Header=BB0_267 Depth=3
	v_bfe_u32 v20, v97, 23, 8
	v_and_b32_e32 v74, 0x7fffff, v97
	v_sub_nc_u32_e32 v75, 0x78, v20
	v_cmp_gt_u32_e32 vcc_lo, 0x79, v20
	v_or_b32_e32 v76, 0x800000, v74
	v_cndmask_b32_e32 v75, 0, v75, vcc_lo
	v_cmp_eq_u32_e32 vcc_lo, 0, v20
	v_add_nc_u32_e32 v20, 0xffffff89, v20
	v_cndmask_b32_e64 v75, v75, 0x77, vcc_lo
	v_cndmask_b32_e32 v74, v76, v74, vcc_lo
	v_cndmask_b32_e64 v20, v20, 0xffffff8a, vcc_lo
	v_lshl_add_u32 v76, 0x100000, v75, -1
	v_lshrrev_b32_e32 v77, v75, v74
	v_lshlrev_b32_e64 v79, v75, 0x80000
	v_add_nc_u32_e32 v75, v75, v20
	v_and_b32_e32 v74, v76, v74
	v_bfe_u32 v78, v77, 20, 1
	v_cmp_eq_u32_e64 s11, v74, v79
	v_add_nc_u32_e32 v76, -1, v78
	v_cndmask_b32_e64 v74, 0, v76, s11
	v_lshrrev_b32_e32 v76, 23, v77
	s_mov_b32 s11, exec_lo
	v_add_nc_u32_e32 v74, v74, v77
	v_xor_b32_e32 v76, 1, v76
	v_and_b32_e32 v20, 0xfffff, v74
	v_add_nc_u32_e32 v74, v20, v77
                                        ; implicit-def: $vgpr20
	v_cmpx_ne_u32_e64 v75, v76
	s_xor_b32 s11, exec_lo, s11
; %bb.486:                              ;   in Loop: Header=BB0_267 Depth=3
	v_cmp_lt_u32_e32 vcc_lo, 0xffffff, v74
	v_sub_nc_u32_e32 v20, v75, v76
	v_cndmask_b32_e64 v75, 0, 1, vcc_lo
	v_add_co_ci_u32_e64 v20, null, 0, v20, vcc_lo
	v_lshrrev_b32_e32 v74, v75, v74
; %bb.487:                              ;   in Loop: Header=BB0_267 Depth=3
	s_andn2_saveexec_b32 s11, s11
; %bb.488:                              ;   in Loop: Header=BB0_267 Depth=3
	v_bfe_u32 v20, v74, 23, 1
; %bb.489:                              ;   in Loop: Header=BB0_267 Depth=3
	s_or_b32 exec_lo, exec_lo, s11
	v_lshrrev_b32_e32 v74, 20, v74
	v_min_i32_e32 v75, 15, v20
	v_cmp_gt_i32_e32 vcc_lo, 16, v20
	v_and_b32_sdwa v97, v97, v41 dst_sel:DWORD dst_unused:UNUSED_PAD src0_sel:BYTE_3 src1_sel:DWORD
	v_lshlrev_b32_e32 v75, 3, v75
	v_cndmask_b32_e32 v74, 7, v74, vcc_lo
	v_and_b32_e32 v75, 0xf8, v75
	v_and_b32_e32 v76, 7, v74
	v_or_b32_e32 v20, v20, v74
	v_or3_b32 v97, v75, v97, v76
	v_cmp_ne_u32_e32 vcc_lo, 0, v20
	v_cndmask_b32_e32 v20, 0, v97, vcc_lo
.LBB0_490:                              ;   in Loop: Header=BB0_267 Depth=3
	s_or_b32 exec_lo, exec_lo, s25
.LBB0_491:                              ;   in Loop: Header=BB0_267 Depth=3
	s_or_b32 exec_lo, exec_lo, s24
	v_cmp_gt_i16_sdwa s24, v21, v40 src0_sel:BYTE_3 src1_sel:DWORD
	s_mov_b32 s11, 0
	s_and_saveexec_b32 s25, s24
	s_xor_b32 s24, exec_lo, s25
	s_cbranch_execnz .LBB0_593
; %bb.492:                              ;   in Loop: Header=BB0_267 Depth=3
	s_or_saveexec_b32 s24, s24
	v_mov_b32_e32 v97, 0x7f800001
	s_xor_b32 exec_lo, exec_lo, s24
	s_cbranch_execnz .LBB0_596
.LBB0_493:                              ;   in Loop: Header=BB0_267 Depth=3
	s_or_b32 exec_lo, exec_lo, s24
	s_and_saveexec_b32 s24, s11
	s_cbranch_execz .LBB0_495
.LBB0_494:                              ;   in Loop: Header=BB0_267 Depth=3
	v_bfe_u32 v97, v21, 24, 3
	v_bfe_u32 v76, v21, 27, 4
	v_ffbh_u32_e32 v74, v97
	v_cmp_eq_u32_e32 vcc_lo, 0, v76
	v_min_u32_e32 v74, 32, v74
	v_subrev_nc_u32_e32 v75, 28, v74
	v_sub_nc_u32_e32 v74, 29, v74
	v_lshlrev_b32_sdwa v75, v75, v21 dst_sel:DWORD dst_unused:UNUSED_PAD src0_sel:DWORD src1_sel:BYTE_3
	v_cndmask_b32_e32 v74, v76, v74, vcc_lo
	v_and_b32_e32 v21, 0x80000000, v21
	v_and_b32_e32 v75, 7, v75
	v_lshl_add_u32 v74, v74, 23, 0x3b800000
	v_cndmask_b32_e32 v97, v97, v75, vcc_lo
	v_lshlrev_b32_e32 v97, 20, v97
	v_or3_b32 v97, v21, v74, v97
.LBB0_495:                              ;   in Loop: Header=BB0_267 Depth=3
	s_or_b32 exec_lo, exec_lo, s24
	v_cmp_gt_i16_sdwa s24, v54, v40 src0_sel:BYTE_3 src1_sel:DWORD
	s_mov_b32 s11, 0
	s_and_saveexec_b32 s25, s24
	s_xor_b32 s24, exec_lo, s25
	s_cbranch_execnz .LBB0_597
; %bb.496:                              ;   in Loop: Header=BB0_267 Depth=3
	s_or_saveexec_b32 s24, s24
	v_mov_b32_e32 v21, 0x7f800001
	s_xor_b32 exec_lo, exec_lo, s24
	s_cbranch_execnz .LBB0_600
.LBB0_497:                              ;   in Loop: Header=BB0_267 Depth=3
	s_or_b32 exec_lo, exec_lo, s24
	s_and_saveexec_b32 s24, s11
	s_cbranch_execz .LBB0_499
.LBB0_498:                              ;   in Loop: Header=BB0_267 Depth=3
	v_bfe_u32 v21, v54, 24, 3
	v_bfe_u32 v76, v54, 27, 4
	v_ffbh_u32_e32 v74, v21
	v_cmp_eq_u32_e32 vcc_lo, 0, v76
	v_min_u32_e32 v74, 32, v74
	v_subrev_nc_u32_e32 v75, 28, v74
	v_sub_nc_u32_e32 v74, 29, v74
	v_lshlrev_b32_sdwa v75, v75, v54 dst_sel:DWORD dst_unused:UNUSED_PAD src0_sel:DWORD src1_sel:BYTE_3
	v_cndmask_b32_e32 v74, v76, v74, vcc_lo
	v_and_b32_e32 v54, 0x80000000, v54
	v_and_b32_e32 v75, 7, v75
	v_lshl_add_u32 v74, v74, 23, 0x3b800000
	v_cndmask_b32_e32 v21, v21, v75, vcc_lo
	v_lshlrev_b32_e32 v21, 20, v21
	v_or3_b32 v21, v54, v74, v21
.LBB0_499:                              ;   in Loop: Header=BB0_267 Depth=3
	s_or_b32 exec_lo, exec_lo, s24
	v_add_f32_e32 v21, v97, v21
	v_and_b32_e32 v54, 0x7f800000, v21
	v_cmp_ne_u32_e32 vcc_lo, 0x7f800000, v54
	v_mov_b32_e32 v54, 0x8000
	s_and_saveexec_b32 s24, vcc_lo
	s_cbranch_execz .LBB0_266
; %bb.500:                              ;   in Loop: Header=BB0_267 Depth=3
	v_mov_b32_e32 v54, 0
	s_mov_b32 s25, exec_lo
	v_cmpx_ne_u32_e32 0, v21
	s_cbranch_execz .LBB0_265
; %bb.501:                              ;   in Loop: Header=BB0_267 Depth=3
	v_bfe_u32 v54, v21, 23, 8
	v_and_b32_e32 v97, 0x7fffff, v21
	v_sub_nc_u32_e32 v74, 0x78, v54
	v_cmp_gt_u32_e32 vcc_lo, 0x79, v54
	v_or_b32_e32 v75, 0x800000, v97
	v_cndmask_b32_e32 v74, 0, v74, vcc_lo
	v_cmp_eq_u32_e32 vcc_lo, 0, v54
	v_add_nc_u32_e32 v54, 0xffffff89, v54
	v_cndmask_b32_e64 v74, v74, 0x77, vcc_lo
	v_cndmask_b32_e32 v97, v75, v97, vcc_lo
	v_cndmask_b32_e64 v54, v54, 0xffffff8a, vcc_lo
	v_lshl_add_u32 v75, 0x100000, v74, -1
	v_lshrrev_b32_e32 v76, v74, v97
	v_lshlrev_b32_e64 v78, v74, 0x80000
	v_add_nc_u32_e32 v74, v74, v54
	v_and_b32_e32 v97, v75, v97
	v_bfe_u32 v77, v76, 20, 1
	v_cmp_eq_u32_e64 s11, v97, v78
	v_add_nc_u32_e32 v75, -1, v77
	v_cndmask_b32_e64 v97, 0, v75, s11
	v_lshrrev_b32_e32 v75, 23, v76
	s_mov_b32 s11, exec_lo
	v_add_nc_u32_e32 v97, v97, v76
	v_xor_b32_e32 v75, 1, v75
	v_and_b32_e32 v54, 0xfffff, v97
	v_add_nc_u32_e32 v97, v54, v76
                                        ; implicit-def: $vgpr54
	v_cmpx_ne_u32_e64 v74, v75
	s_xor_b32 s11, exec_lo, s11
; %bb.502:                              ;   in Loop: Header=BB0_267 Depth=3
	v_cmp_lt_u32_e32 vcc_lo, 0xffffff, v97
	v_sub_nc_u32_e32 v54, v74, v75
	v_cndmask_b32_e64 v74, 0, 1, vcc_lo
	v_add_co_ci_u32_e64 v54, null, 0, v54, vcc_lo
	v_lshrrev_b32_e32 v97, v74, v97
; %bb.503:                              ;   in Loop: Header=BB0_267 Depth=3
	s_andn2_saveexec_b32 s11, s11
	s_cbranch_execz .LBB0_264
; %bb.504:                              ;   in Loop: Header=BB0_267 Depth=3
	v_bfe_u32 v54, v97, 23, 1
	s_branch .LBB0_264
.LBB0_505:                              ;   in Loop: Header=BB0_267 Depth=3
	v_cmp_eq_u16_sdwa s26, v22, v41 src0_sel:BYTE_0 src1_sel:DWORD
	s_mov_b32 s11, -1
	s_and_saveexec_b32 s25, s26
; %bb.506:                              ;   in Loop: Header=BB0_267 Depth=3
	s_xor_b32 s11, exec_lo, -1
; %bb.507:                              ;   in Loop: Header=BB0_267 Depth=3
	s_or_b32 exec_lo, exec_lo, s25
	s_and_b32 s11, s11, exec_lo
	s_or_saveexec_b32 s24, s24
	v_mov_b32_e32 v17, 0x7f800001
	s_xor_b32 exec_lo, exec_lo, s24
	s_cbranch_execz .LBB0_285
.LBB0_508:                              ;   in Loop: Header=BB0_267 Depth=3
	v_cmp_ne_u16_sdwa s25, v22, v55 src0_sel:BYTE_0 src1_sel:DWORD
	v_mov_b32_e32 v17, 0
	s_andn2_b32 s11, s11, exec_lo
	s_and_b32 s25, s25, exec_lo
	s_or_b32 s11, s11, s25
	s_or_b32 exec_lo, exec_lo, s24
	s_and_saveexec_b32 s24, s11
	s_cbranch_execnz .LBB0_286
	s_branch .LBB0_287
.LBB0_509:                              ;   in Loop: Header=BB0_267 Depth=3
	v_cmp_eq_u16_sdwa s26, v22, v41 src0_sel:BYTE_1 src1_sel:DWORD
	s_mov_b32 s11, -1
	s_and_saveexec_b32 s25, s26
; %bb.510:                              ;   in Loop: Header=BB0_267 Depth=3
	s_xor_b32 s11, exec_lo, -1
; %bb.511:                              ;   in Loop: Header=BB0_267 Depth=3
	s_or_b32 exec_lo, exec_lo, s25
	s_and_b32 s11, s11, exec_lo
	s_or_saveexec_b32 s24, s24
	v_mov_b32_e32 v54, 0x7f800001
	s_xor_b32 exec_lo, exec_lo, s24
	s_cbranch_execz .LBB0_297
.LBB0_512:                              ;   in Loop: Header=BB0_267 Depth=3
	v_cmp_ne_u16_sdwa s25, v22, v55 src0_sel:BYTE_1 src1_sel:DWORD
	v_mov_b32_e32 v54, 0
	s_andn2_b32 s11, s11, exec_lo
	s_and_b32 s25, s25, exec_lo
	s_or_b32 s11, s11, s25
	s_or_b32 exec_lo, exec_lo, s24
	s_and_saveexec_b32 s24, s11
	s_cbranch_execnz .LBB0_298
	s_branch .LBB0_299
.LBB0_513:                              ;   in Loop: Header=BB0_267 Depth=3
	s_mov_b32 s11, -1
	s_mov_b32 s25, exec_lo
	v_cmpx_eq_u16_e32 0x80, v96
; %bb.514:                              ;   in Loop: Header=BB0_267 Depth=3
	s_xor_b32 s11, exec_lo, -1
; %bb.515:                              ;   in Loop: Header=BB0_267 Depth=3
	s_or_b32 exec_lo, exec_lo, s25
	s_and_b32 s11, s11, exec_lo
                                        ; implicit-def: $vgpr96
	s_or_saveexec_b32 s24, s24
	v_mov_b32_e32 v54, 0x7f800001
	s_xor_b32 exec_lo, exec_lo, s24
	s_cbranch_execz .LBB0_309
.LBB0_516:                              ;   in Loop: Header=BB0_267 Depth=3
	v_cmp_ne_u16_e32 vcc_lo, 0, v96
	v_mov_b32_e32 v54, 0
	s_andn2_b32 s11, s11, exec_lo
	s_and_b32 s25, vcc_lo, exec_lo
	s_or_b32 s11, s11, s25
	s_or_b32 exec_lo, exec_lo, s24
	s_and_saveexec_b32 s24, s11
	s_cbranch_execnz .LBB0_310
	s_branch .LBB0_311
.LBB0_517:                              ;   in Loop: Header=BB0_267 Depth=3
	v_cmp_eq_u16_sdwa s26, v22, v41 src0_sel:BYTE_3 src1_sel:DWORD
	s_mov_b32 s11, -1
	s_and_saveexec_b32 s25, s26
; %bb.518:                              ;   in Loop: Header=BB0_267 Depth=3
	s_xor_b32 s11, exec_lo, -1
; %bb.519:                              ;   in Loop: Header=BB0_267 Depth=3
	s_or_b32 exec_lo, exec_lo, s25
	s_and_b32 s11, s11, exec_lo
	s_or_saveexec_b32 s24, s24
	v_mov_b32_e32 v54, 0x7f800001
	s_xor_b32 exec_lo, exec_lo, s24
	s_cbranch_execz .LBB0_321
.LBB0_520:                              ;   in Loop: Header=BB0_267 Depth=3
	v_cmp_ne_u16_sdwa s25, v22, v55 src0_sel:BYTE_3 src1_sel:DWORD
	v_mov_b32_e32 v54, 0
	s_andn2_b32 s11, s11, exec_lo
	s_and_b32 s25, s25, exec_lo
	s_or_b32 s11, s11, s25
	s_or_b32 exec_lo, exec_lo, s24
	s_and_saveexec_b32 s24, s11
	s_cbranch_execnz .LBB0_322
	s_branch .LBB0_323
.LBB0_521:                              ;   in Loop: Header=BB0_267 Depth=3
	v_cmp_eq_u16_sdwa s26, v54, v41 src0_sel:BYTE_0 src1_sel:DWORD
	s_mov_b32 s11, -1
	s_and_saveexec_b32 s25, s26
; %bb.522:                              ;   in Loop: Header=BB0_267 Depth=3
	s_xor_b32 s11, exec_lo, -1
; %bb.523:                              ;   in Loop: Header=BB0_267 Depth=3
	s_or_b32 exec_lo, exec_lo, s25
	s_and_b32 s11, s11, exec_lo
	s_or_saveexec_b32 s24, s24
	v_mov_b32_e32 v20, 0x7f800001
	s_xor_b32 exec_lo, exec_lo, s24
	s_cbranch_execz .LBB0_333
.LBB0_524:                              ;   in Loop: Header=BB0_267 Depth=3
	v_cmp_ne_u16_sdwa s25, v54, v55 src0_sel:BYTE_0 src1_sel:DWORD
	v_mov_b32_e32 v20, 0
	s_andn2_b32 s11, s11, exec_lo
	s_and_b32 s25, s25, exec_lo
	s_or_b32 s11, s11, s25
	s_or_b32 exec_lo, exec_lo, s24
	s_and_saveexec_b32 s24, s11
	s_cbranch_execnz .LBB0_334
	s_branch .LBB0_335
.LBB0_525:                              ;   in Loop: Header=BB0_267 Depth=3
	v_cmp_eq_u16_sdwa s26, v54, v41 src0_sel:BYTE_1 src1_sel:DWORD
	s_mov_b32 s11, -1
	s_and_saveexec_b32 s25, s26
; %bb.526:                              ;   in Loop: Header=BB0_267 Depth=3
	s_xor_b32 s11, exec_lo, -1
; %bb.527:                              ;   in Loop: Header=BB0_267 Depth=3
	s_or_b32 exec_lo, exec_lo, s25
	s_and_b32 s11, s11, exec_lo
	s_or_saveexec_b32 s24, s24
	v_mov_b32_e32 v20, 0x7f800001
	s_xor_b32 exec_lo, exec_lo, s24
	s_cbranch_execz .LBB0_345
.LBB0_528:                              ;   in Loop: Header=BB0_267 Depth=3
	v_cmp_ne_u16_sdwa s25, v54, v55 src0_sel:BYTE_1 src1_sel:DWORD
	v_mov_b32_e32 v20, 0
	s_andn2_b32 s11, s11, exec_lo
	s_and_b32 s25, s25, exec_lo
	s_or_b32 s11, s11, s25
	s_or_b32 exec_lo, exec_lo, s24
	s_and_saveexec_b32 s24, s11
	s_cbranch_execnz .LBB0_346
	s_branch .LBB0_347
.LBB0_529:                              ;   in Loop: Header=BB0_267 Depth=3
	s_mov_b32 s11, -1
	s_mov_b32 s25, exec_lo
	v_cmpx_eq_u16_e32 0x80, v74
; %bb.530:                              ;   in Loop: Header=BB0_267 Depth=3
	s_xor_b32 s11, exec_lo, -1
; %bb.531:                              ;   in Loop: Header=BB0_267 Depth=3
	s_or_b32 exec_lo, exec_lo, s25
	s_and_b32 s11, s11, exec_lo
                                        ; implicit-def: $vgpr74
	s_or_saveexec_b32 s24, s24
	v_mov_b32_e32 v20, 0x7f800001
	s_xor_b32 exec_lo, exec_lo, s24
	s_cbranch_execz .LBB0_357
.LBB0_532:                              ;   in Loop: Header=BB0_267 Depth=3
	v_cmp_ne_u16_e32 vcc_lo, 0, v74
	v_mov_b32_e32 v20, 0
	s_andn2_b32 s11, s11, exec_lo
	s_and_b32 s25, vcc_lo, exec_lo
	s_or_b32 s11, s11, s25
	s_or_b32 exec_lo, exec_lo, s24
	s_and_saveexec_b32 s24, s11
	s_cbranch_execnz .LBB0_358
	s_branch .LBB0_359
.LBB0_533:                              ;   in Loop: Header=BB0_267 Depth=3
	v_cmp_eq_u16_sdwa s26, v54, v41 src0_sel:BYTE_3 src1_sel:DWORD
	s_mov_b32 s11, -1
	s_and_saveexec_b32 s25, s26
; %bb.534:                              ;   in Loop: Header=BB0_267 Depth=3
	s_xor_b32 s11, exec_lo, -1
; %bb.535:                              ;   in Loop: Header=BB0_267 Depth=3
	s_or_b32 exec_lo, exec_lo, s25
	s_and_b32 s11, s11, exec_lo
	s_or_saveexec_b32 s24, s24
	v_mov_b32_e32 v74, 0x7f800001
	s_xor_b32 exec_lo, exec_lo, s24
	s_cbranch_execz .LBB0_369
.LBB0_536:                              ;   in Loop: Header=BB0_267 Depth=3
	v_cmp_ne_u16_sdwa s25, v54, v55 src0_sel:BYTE_3 src1_sel:DWORD
	v_mov_b32_e32 v74, 0
	s_andn2_b32 s11, s11, exec_lo
	s_and_b32 s25, s25, exec_lo
	s_or_b32 s11, s11, s25
	s_or_b32 exec_lo, exec_lo, s24
	s_and_saveexec_b32 s24, s11
	s_cbranch_execnz .LBB0_370
	s_branch .LBB0_371
.LBB0_537:                              ;   in Loop: Header=BB0_267 Depth=3
	v_cmp_eq_u16_sdwa s26, v19, v41 src0_sel:BYTE_0 src1_sel:DWORD
	s_mov_b32 s11, -1
	s_and_saveexec_b32 s25, s26
; %bb.538:                              ;   in Loop: Header=BB0_267 Depth=3
	s_xor_b32 s11, exec_lo, -1
; %bb.539:                              ;   in Loop: Header=BB0_267 Depth=3
	s_or_b32 exec_lo, exec_lo, s25
	s_and_b32 s11, s11, exec_lo
	s_or_saveexec_b32 s24, s24
	v_mov_b32_e32 v75, 0x7f800001
	s_xor_b32 exec_lo, exec_lo, s24
	s_cbranch_execz .LBB0_381
.LBB0_540:                              ;   in Loop: Header=BB0_267 Depth=3
	v_cmp_ne_u16_sdwa s25, v19, v55 src0_sel:BYTE_0 src1_sel:DWORD
	v_mov_b32_e32 v75, 0
	s_andn2_b32 s11, s11, exec_lo
	s_and_b32 s25, s25, exec_lo
	s_or_b32 s11, s11, s25
	s_or_b32 exec_lo, exec_lo, s24
	s_and_saveexec_b32 s24, s11
	s_cbranch_execnz .LBB0_382
	s_branch .LBB0_383
.LBB0_541:                              ;   in Loop: Header=BB0_267 Depth=3
	v_cmp_eq_u16_sdwa s26, v74, v41 src0_sel:BYTE_0 src1_sel:DWORD
	s_mov_b32 s11, -1
	s_and_saveexec_b32 s25, s26
; %bb.542:                              ;   in Loop: Header=BB0_267 Depth=3
	s_xor_b32 s11, exec_lo, -1
; %bb.543:                              ;   in Loop: Header=BB0_267 Depth=3
	s_or_b32 exec_lo, exec_lo, s25
	s_and_b32 s11, s11, exec_lo
	s_or_saveexec_b32 s24, s24
	v_mov_b32_e32 v17, 0x7f800001
	s_xor_b32 exec_lo, exec_lo, s24
	s_cbranch_execz .LBB0_385
.LBB0_544:                              ;   in Loop: Header=BB0_267 Depth=3
	v_cmp_ne_u16_sdwa s25, v74, v55 src0_sel:BYTE_0 src1_sel:DWORD
	v_mov_b32_e32 v17, 0
	s_andn2_b32 s11, s11, exec_lo
	s_and_b32 s25, s25, exec_lo
	s_or_b32 s11, s11, s25
	s_or_b32 exec_lo, exec_lo, s24
	s_and_saveexec_b32 s24, s11
	s_cbranch_execnz .LBB0_386
	s_branch .LBB0_387
.LBB0_545:                              ;   in Loop: Header=BB0_267 Depth=3
	v_cmp_eq_u16_sdwa s26, v19, v41 src0_sel:BYTE_1 src1_sel:DWORD
	s_mov_b32 s11, -1
	s_and_saveexec_b32 s25, s26
; %bb.546:                              ;   in Loop: Header=BB0_267 Depth=3
	s_xor_b32 s11, exec_lo, -1
; %bb.547:                              ;   in Loop: Header=BB0_267 Depth=3
	s_or_b32 exec_lo, exec_lo, s25
	s_and_b32 s11, s11, exec_lo
	s_or_saveexec_b32 s24, s24
	v_mov_b32_e32 v83, 0x7f800001
	s_xor_b32 exec_lo, exec_lo, s24
	s_cbranch_execz .LBB0_397
.LBB0_548:                              ;   in Loop: Header=BB0_267 Depth=3
	v_cmp_ne_u16_sdwa s25, v19, v55 src0_sel:BYTE_1 src1_sel:DWORD
	v_mov_b32_e32 v83, 0
	s_andn2_b32 s11, s11, exec_lo
	s_and_b32 s25, s25, exec_lo
	s_or_b32 s11, s11, s25
	s_or_b32 exec_lo, exec_lo, s24
	s_and_saveexec_b32 s24, s11
	s_cbranch_execnz .LBB0_398
	s_branch .LBB0_399
.LBB0_549:                              ;   in Loop: Header=BB0_267 Depth=3
	v_cmp_eq_u16_sdwa s26, v74, v41 src0_sel:BYTE_1 src1_sel:DWORD
	s_mov_b32 s11, -1
	s_and_saveexec_b32 s25, s26
; %bb.550:                              ;   in Loop: Header=BB0_267 Depth=3
	s_xor_b32 s11, exec_lo, -1
; %bb.551:                              ;   in Loop: Header=BB0_267 Depth=3
	s_or_b32 exec_lo, exec_lo, s25
	s_and_b32 s11, s11, exec_lo
	s_or_saveexec_b32 s24, s24
	v_mov_b32_e32 v75, 0x7f800001
	s_xor_b32 exec_lo, exec_lo, s24
	s_cbranch_execz .LBB0_401
.LBB0_552:                              ;   in Loop: Header=BB0_267 Depth=3
	v_cmp_ne_u16_sdwa s25, v74, v55 src0_sel:BYTE_1 src1_sel:DWORD
	v_mov_b32_e32 v75, 0
	s_andn2_b32 s11, s11, exec_lo
	s_and_b32 s25, s25, exec_lo
	s_or_b32 s11, s11, s25
	s_or_b32 exec_lo, exec_lo, s24
	s_and_saveexec_b32 s24, s11
	s_cbranch_execnz .LBB0_402
	s_branch .LBB0_403
.LBB0_553:                              ;   in Loop: Header=BB0_267 Depth=3
	s_mov_b32 s11, -1
	s_mov_b32 s25, exec_lo
	v_cmpx_eq_u16_e32 0x80, v76
; %bb.554:                              ;   in Loop: Header=BB0_267 Depth=3
	s_xor_b32 s11, exec_lo, -1
; %bb.555:                              ;   in Loop: Header=BB0_267 Depth=3
	s_or_b32 exec_lo, exec_lo, s25
	s_and_b32 s11, s11, exec_lo
                                        ; implicit-def: $vgpr76
	s_or_saveexec_b32 s24, s24
	v_mov_b32_e32 v75, 0x7f800001
	s_xor_b32 exec_lo, exec_lo, s24
	s_cbranch_execz .LBB0_413
.LBB0_556:                              ;   in Loop: Header=BB0_267 Depth=3
	v_cmp_ne_u16_e32 vcc_lo, 0, v76
	v_mov_b32_e32 v75, 0
	s_andn2_b32 s11, s11, exec_lo
	s_and_b32 s25, vcc_lo, exec_lo
	s_or_b32 s11, s11, s25
	s_or_b32 exec_lo, exec_lo, s24
	s_and_saveexec_b32 s24, s11
	s_cbranch_execnz .LBB0_414
	s_branch .LBB0_415
.LBB0_557:                              ;   in Loop: Header=BB0_267 Depth=3
	v_cmp_eq_u16_sdwa s26, v96, v41 src0_sel:BYTE_0 src1_sel:DWORD
	s_mov_b32 s11, -1
	s_and_saveexec_b32 s25, s26
; %bb.558:                              ;   in Loop: Header=BB0_267 Depth=3
	s_xor_b32 s11, exec_lo, -1
; %bb.559:                              ;   in Loop: Header=BB0_267 Depth=3
	s_or_b32 exec_lo, exec_lo, s25
	s_and_b32 s11, s11, exec_lo
	s_or_saveexec_b32 s24, s24
	v_mov_b32_e32 v76, 0x7f800001
	s_xor_b32 exec_lo, exec_lo, s24
	s_cbranch_execz .LBB0_417
.LBB0_560:                              ;   in Loop: Header=BB0_267 Depth=3
	v_cmp_ne_u16_sdwa s25, v96, v55 src0_sel:BYTE_0 src1_sel:DWORD
	v_mov_b32_e32 v76, 0
	s_andn2_b32 s11, s11, exec_lo
	s_and_b32 s25, s25, exec_lo
	s_or_b32 s11, s11, s25
	s_or_b32 exec_lo, exec_lo, s24
	v_lshl_or_b32 v73, v96, 16, v74
	s_and_saveexec_b32 s24, s11
	s_cbranch_execnz .LBB0_418
	s_branch .LBB0_419
.LBB0_561:                              ;   in Loop: Header=BB0_267 Depth=3
	v_cmp_eq_u16_sdwa s26, v19, v41 src0_sel:BYTE_3 src1_sel:DWORD
	s_mov_b32 s11, -1
	s_and_saveexec_b32 s25, s26
; %bb.562:                              ;   in Loop: Header=BB0_267 Depth=3
	s_xor_b32 s11, exec_lo, -1
; %bb.563:                              ;   in Loop: Header=BB0_267 Depth=3
	s_or_b32 exec_lo, exec_lo, s25
	s_and_b32 s11, s11, exec_lo
	s_or_saveexec_b32 s24, s24
	v_mov_b32_e32 v74, 0x7f800001
	s_xor_b32 exec_lo, exec_lo, s24
	s_cbranch_execz .LBB0_429
.LBB0_564:                              ;   in Loop: Header=BB0_267 Depth=3
	v_cmp_ne_u16_sdwa s25, v19, v55 src0_sel:BYTE_3 src1_sel:DWORD
	v_mov_b32_e32 v74, 0
	s_andn2_b32 s11, s11, exec_lo
	s_and_b32 s25, s25, exec_lo
	s_or_b32 s11, s11, s25
	s_or_b32 exec_lo, exec_lo, s24
	s_and_saveexec_b32 s24, s11
	s_cbranch_execnz .LBB0_430
	s_branch .LBB0_431
.LBB0_565:                              ;   in Loop: Header=BB0_267 Depth=3
	v_cmp_eq_u16_sdwa s26, v73, v41 src0_sel:BYTE_3 src1_sel:DWORD
	s_mov_b32 s11, -1
	s_and_saveexec_b32 s25, s26
; %bb.566:                              ;   in Loop: Header=BB0_267 Depth=3
	s_xor_b32 s11, exec_lo, -1
; %bb.567:                              ;   in Loop: Header=BB0_267 Depth=3
	s_or_b32 exec_lo, exec_lo, s25
	s_and_b32 s11, s11, exec_lo
	s_or_saveexec_b32 s24, s24
	v_mov_b32_e32 v19, 0x7f800001
	s_xor_b32 exec_lo, exec_lo, s24
	s_cbranch_execz .LBB0_433
.LBB0_568:                              ;   in Loop: Header=BB0_267 Depth=3
	v_cmp_ne_u16_sdwa s25, v73, v55 src0_sel:BYTE_3 src1_sel:DWORD
	v_mov_b32_e32 v19, 0
	s_andn2_b32 s11, s11, exec_lo
	s_and_b32 s25, s25, exec_lo
	s_or_b32 s11, s11, s25
	s_or_b32 exec_lo, exec_lo, s24
	s_and_saveexec_b32 s24, s11
	s_cbranch_execnz .LBB0_434
	s_branch .LBB0_435
.LBB0_569:                              ;   in Loop: Header=BB0_267 Depth=3
	v_cmp_eq_u16_sdwa s26, v21, v41 src0_sel:BYTE_0 src1_sel:DWORD
	s_mov_b32 s11, -1
	s_and_saveexec_b32 s25, s26
; %bb.570:                              ;   in Loop: Header=BB0_267 Depth=3
	s_xor_b32 s11, exec_lo, -1
; %bb.571:                              ;   in Loop: Header=BB0_267 Depth=3
	s_or_b32 exec_lo, exec_lo, s25
	s_and_b32 s11, s11, exec_lo
	s_or_saveexec_b32 s24, s24
	v_mov_b32_e32 v73, 0x7f800001
	s_xor_b32 exec_lo, exec_lo, s24
	s_cbranch_execz .LBB0_445
.LBB0_572:                              ;   in Loop: Header=BB0_267 Depth=3
	v_cmp_ne_u16_sdwa s25, v21, v55 src0_sel:BYTE_0 src1_sel:DWORD
	v_mov_b32_e32 v73, 0
	s_andn2_b32 s11, s11, exec_lo
	s_and_b32 s25, s25, exec_lo
	s_or_b32 s11, s11, s25
	s_or_b32 exec_lo, exec_lo, s24
	s_and_saveexec_b32 s24, s11
	s_cbranch_execnz .LBB0_446
	s_branch .LBB0_447
.LBB0_573:                              ;   in Loop: Header=BB0_267 Depth=3
	v_cmp_eq_u16_sdwa s26, v97, v41 src0_sel:BYTE_0 src1_sel:DWORD
	s_mov_b32 s11, -1
	s_and_saveexec_b32 s25, s26
; %bb.574:                              ;   in Loop: Header=BB0_267 Depth=3
	s_xor_b32 s11, exec_lo, -1
; %bb.575:                              ;   in Loop: Header=BB0_267 Depth=3
	s_or_b32 exec_lo, exec_lo, s25
	s_and_b32 s11, s11, exec_lo
	s_or_saveexec_b32 s24, s24
	v_mov_b32_e32 v22, 0x7f800001
	s_xor_b32 exec_lo, exec_lo, s24
	s_cbranch_execz .LBB0_449
.LBB0_576:                              ;   in Loop: Header=BB0_267 Depth=3
	v_cmp_ne_u16_sdwa s25, v97, v55 src0_sel:BYTE_0 src1_sel:DWORD
	v_mov_b32_e32 v22, 0
	s_andn2_b32 s11, s11, exec_lo
	s_and_b32 s25, s25, exec_lo
	s_or_b32 s11, s11, s25
	s_or_b32 exec_lo, exec_lo, s24
	s_and_saveexec_b32 s24, s11
	s_cbranch_execnz .LBB0_450
	s_branch .LBB0_451
.LBB0_577:                              ;   in Loop: Header=BB0_267 Depth=3
	v_cmp_eq_u16_sdwa s26, v21, v41 src0_sel:BYTE_1 src1_sel:DWORD
	s_mov_b32 s11, -1
	s_and_saveexec_b32 s25, s26
; %bb.578:                              ;   in Loop: Header=BB0_267 Depth=3
	s_xor_b32 s11, exec_lo, -1
; %bb.579:                              ;   in Loop: Header=BB0_267 Depth=3
	s_or_b32 exec_lo, exec_lo, s25
	s_and_b32 s11, s11, exec_lo
	s_or_saveexec_b32 s24, s24
	v_mov_b32_e32 v73, 0x7f800001
	s_xor_b32 exec_lo, exec_lo, s24
	s_cbranch_execz .LBB0_461
.LBB0_580:                              ;   in Loop: Header=BB0_267 Depth=3
	v_cmp_ne_u16_sdwa s25, v21, v55 src0_sel:BYTE_1 src1_sel:DWORD
	v_mov_b32_e32 v73, 0
	s_andn2_b32 s11, s11, exec_lo
	s_and_b32 s25, s25, exec_lo
	s_or_b32 s11, s11, s25
	s_or_b32 exec_lo, exec_lo, s24
	s_and_saveexec_b32 s24, s11
	s_cbranch_execnz .LBB0_462
	s_branch .LBB0_463
.LBB0_581:                              ;   in Loop: Header=BB0_267 Depth=3
	v_cmp_eq_u16_sdwa s26, v97, v41 src0_sel:BYTE_1 src1_sel:DWORD
	s_mov_b32 s11, -1
	s_and_saveexec_b32 s25, s26
; %bb.582:                              ;   in Loop: Header=BB0_267 Depth=3
	s_xor_b32 s11, exec_lo, -1
; %bb.583:                              ;   in Loop: Header=BB0_267 Depth=3
	s_or_b32 exec_lo, exec_lo, s25
	s_and_b32 s11, s11, exec_lo
	s_or_saveexec_b32 s24, s24
	v_mov_b32_e32 v74, 0x7f800001
	s_xor_b32 exec_lo, exec_lo, s24
	s_cbranch_execz .LBB0_465
.LBB0_584:                              ;   in Loop: Header=BB0_267 Depth=3
	v_cmp_ne_u16_sdwa s25, v97, v55 src0_sel:BYTE_1 src1_sel:DWORD
	v_mov_b32_e32 v74, 0
	s_andn2_b32 s11, s11, exec_lo
	s_and_b32 s25, s25, exec_lo
	s_or_b32 s11, s11, s25
	s_or_b32 exec_lo, exec_lo, s24
	s_and_saveexec_b32 s24, s11
	s_cbranch_execnz .LBB0_466
	s_branch .LBB0_467
.LBB0_585:                              ;   in Loop: Header=BB0_267 Depth=3
	s_mov_b32 s11, -1
	s_mov_b32 s25, exec_lo
	v_cmpx_eq_u16_e32 0x80, v75
; %bb.586:                              ;   in Loop: Header=BB0_267 Depth=3
	s_xor_b32 s11, exec_lo, -1
; %bb.587:                              ;   in Loop: Header=BB0_267 Depth=3
	s_or_b32 exec_lo, exec_lo, s25
	s_and_b32 s11, s11, exec_lo
                                        ; implicit-def: $vgpr75
	s_or_saveexec_b32 s24, s24
	v_mov_b32_e32 v74, 0x7f800001
	s_xor_b32 exec_lo, exec_lo, s24
	s_cbranch_execz .LBB0_477
.LBB0_588:                              ;   in Loop: Header=BB0_267 Depth=3
	v_cmp_ne_u16_e32 vcc_lo, 0, v75
	v_mov_b32_e32 v74, 0
	s_andn2_b32 s11, s11, exec_lo
	s_and_b32 s25, vcc_lo, exec_lo
	s_or_b32 s11, s11, s25
	s_or_b32 exec_lo, exec_lo, s24
	s_and_saveexec_b32 s24, s11
	s_cbranch_execnz .LBB0_478
	s_branch .LBB0_479
.LBB0_589:                              ;   in Loop: Header=BB0_267 Depth=3
	v_cmp_eq_u16_sdwa s26, v20, v41 src0_sel:BYTE_0 src1_sel:DWORD
	s_mov_b32 s11, -1
	s_and_saveexec_b32 s25, s26
; %bb.590:                              ;   in Loop: Header=BB0_267 Depth=3
	s_xor_b32 s11, exec_lo, -1
; %bb.591:                              ;   in Loop: Header=BB0_267 Depth=3
	s_or_b32 exec_lo, exec_lo, s25
	s_and_b32 s11, s11, exec_lo
	s_or_saveexec_b32 s24, s24
	v_mov_b32_e32 v75, 0x7f800001
	s_xor_b32 exec_lo, exec_lo, s24
	s_cbranch_execz .LBB0_481
.LBB0_592:                              ;   in Loop: Header=BB0_267 Depth=3
	v_cmp_ne_u16_sdwa s25, v20, v55 src0_sel:BYTE_0 src1_sel:DWORD
	v_mov_b32_e32 v75, 0
	s_andn2_b32 s11, s11, exec_lo
	s_and_b32 s25, s25, exec_lo
	s_or_b32 s11, s11, s25
	s_or_b32 exec_lo, exec_lo, s24
	v_lshl_or_b32 v54, v20, 16, v97
	s_and_saveexec_b32 s24, s11
	s_cbranch_execnz .LBB0_482
	s_branch .LBB0_483
.LBB0_593:                              ;   in Loop: Header=BB0_267 Depth=3
	v_cmp_eq_u16_sdwa s26, v21, v41 src0_sel:BYTE_3 src1_sel:DWORD
	s_mov_b32 s11, -1
	s_and_saveexec_b32 s25, s26
; %bb.594:                              ;   in Loop: Header=BB0_267 Depth=3
	s_xor_b32 s11, exec_lo, -1
; %bb.595:                              ;   in Loop: Header=BB0_267 Depth=3
	s_or_b32 exec_lo, exec_lo, s25
	s_and_b32 s11, s11, exec_lo
	s_or_saveexec_b32 s24, s24
	v_mov_b32_e32 v97, 0x7f800001
	s_xor_b32 exec_lo, exec_lo, s24
	s_cbranch_execz .LBB0_493
.LBB0_596:                              ;   in Loop: Header=BB0_267 Depth=3
	v_cmp_ne_u16_sdwa s25, v21, v55 src0_sel:BYTE_3 src1_sel:DWORD
	v_mov_b32_e32 v97, 0
	s_andn2_b32 s11, s11, exec_lo
	s_and_b32 s25, s25, exec_lo
	s_or_b32 s11, s11, s25
	s_or_b32 exec_lo, exec_lo, s24
	s_and_saveexec_b32 s24, s11
	s_cbranch_execnz .LBB0_494
	s_branch .LBB0_495
.LBB0_597:                              ;   in Loop: Header=BB0_267 Depth=3
	v_cmp_eq_u16_sdwa s26, v54, v41 src0_sel:BYTE_3 src1_sel:DWORD
	s_mov_b32 s11, -1
	s_and_saveexec_b32 s25, s26
; %bb.598:                              ;   in Loop: Header=BB0_267 Depth=3
	s_xor_b32 s11, exec_lo, -1
; %bb.599:                              ;   in Loop: Header=BB0_267 Depth=3
	s_or_b32 exec_lo, exec_lo, s25
	s_and_b32 s11, s11, exec_lo
	s_or_saveexec_b32 s24, s24
	v_mov_b32_e32 v21, 0x7f800001
	s_xor_b32 exec_lo, exec_lo, s24
	s_cbranch_execz .LBB0_497
.LBB0_600:                              ;   in Loop: Header=BB0_267 Depth=3
	v_cmp_ne_u16_sdwa s25, v54, v55 src0_sel:BYTE_3 src1_sel:DWORD
	v_mov_b32_e32 v21, 0
	s_andn2_b32 s11, s11, exec_lo
	s_and_b32 s25, s25, exec_lo
	s_or_b32 s11, s11, s25
	s_or_b32 exec_lo, exec_lo, s24
	s_and_saveexec_b32 s24, s11
	s_cbranch_execnz .LBB0_498
	s_branch .LBB0_499
.LBB0_601:                              ;   in Loop: Header=BB0_221 Depth=2
	s_or_b32 exec_lo, exec_lo, s23
	s_or_b32 exec_lo, exec_lo, s12
	s_and_saveexec_b32 s11, s7
	s_cbranch_execz .LBB0_258
.LBB0_602:                              ;   in Loop: Header=BB0_221 Depth=2
	s_and_saveexec_b32 s12, s19
	s_xor_b32 s12, exec_lo, s12
	s_cbranch_execz .LBB0_617
; %bb.603:                              ;   in Loop: Header=BB0_221 Depth=2
	s_and_saveexec_b32 s23, s8
	s_cbranch_execz .LBB0_616
; %bb.604:                              ;   in Loop: Header=BB0_221 Depth=2
	s_mov_b32 s25, exec_lo
	s_mov_b32 s24, exec_lo
	v_mbcnt_lo_u32_b32 v17, s25, 0
	s_waitcnt vmcnt(0) lgkmcnt(0)
	s_waitcnt_vscnt null, 0x0
	buffer_gl1_inv
	buffer_gl0_inv
	v_cmpx_eq_u32_e32 0, v17
	s_cbranch_execz .LBB0_606
; %bb.605:                              ;   in Loop: Header=BB0_221 Depth=2
	s_bcnt1_i32_b32 s25, s25
	v_mov_b32_e32 v54, s25
	ds_add_u64 v0, v[54:55]
	s_trap 2
.LBB0_606:                              ;   in Loop: Header=BB0_221 Depth=2
	s_or_b32 exec_lo, exec_lo, s24
	s_trap 2
	ds_read_b64 v[19:20], v0
	s_waitcnt lgkmcnt(0)
	buffer_gl0_inv
	v_add_co_u32 v2, vcc_lo, v2, v102
	v_add_co_ci_u32_e64 v3, null, 0, v3, vcc_lo
	s_mov_b32 s24, exec_lo
	v_cmpx_lt_u64_e64 v[19:20], v[2:3]
	s_cbranch_execz .LBB0_615
; %bb.607:                              ;   in Loop: Header=BB0_221 Depth=2
	s_mov_b32 s25, 0
	s_mov_b32 s28, 0
                                        ; implicit-def: $sgpr26
                                        ; implicit-def: $sgpr27
	s_inst_prefetch 0x1
	s_branch .LBB0_609
	.p2align	6
.LBB0_608:                              ;   in Loop: Header=BB0_609 Depth=3
	s_or_b32 exec_lo, exec_lo, s40
	s_and_b32 s29, exec_lo, s41
	s_or_b32 s25, s29, s25
	s_andn2_b32 s26, s26, exec_lo
	s_and_b32 s29, s27, exec_lo
	s_or_b32 s26, s26, s29
	s_andn2_b32 exec_lo, exec_lo, s25
	s_cbranch_execz .LBB0_613
.LBB0_609:                              ;   Parent Loop BB0_44 Depth=1
                                        ;     Parent Loop BB0_221 Depth=2
                                        ; =>    This Inner Loop Header: Depth=3
	s_add_i32 s28, s28, 1
	s_cmpk_lg_i32 s28, 0x2710
	s_cselect_b32 s29, -1, 0
	s_and_b32 vcc_lo, exec_lo, s29
	s_cbranch_vccz .LBB0_611
; %bb.610:                              ;   in Loop: Header=BB0_609 Depth=3
	s_mov_b32 s41, -1
	s_or_b32 s27, s27, exec_lo
	s_and_saveexec_b32 s40, s29
	s_cbranch_execz .LBB0_608
	s_branch .LBB0_612
	.p2align	6
.LBB0_611:                              ;   in Loop: Header=BB0_609 Depth=3
	s_trap 2
	ds_read_b64 v[19:20], v0
	s_andn2_b32 s29, s29, exec_lo
	s_mov_b32 s28, 0
	s_waitcnt lgkmcnt(0)
	flat_load_dword v17, v[19:20] glc dlc
	s_waitcnt vmcnt(0) lgkmcnt(0)
	buffer_gl1_inv
	buffer_gl0_inv
	v_cmp_eq_u32_e32 vcc_lo, 0, v17
	s_and_b32 s40, vcc_lo, exec_lo
	s_or_b32 s29, s29, s40
	s_mov_b32 s41, -1
	s_or_b32 s27, s27, exec_lo
	s_and_saveexec_b32 s40, s29
	s_cbranch_execz .LBB0_608
.LBB0_612:                              ;   in Loop: Header=BB0_609 Depth=3
	s_sleep 1
	s_trap 2
	ds_read_b64 v[19:20], v0
	s_waitcnt lgkmcnt(0)
	buffer_gl0_inv
	s_andn2_b32 s27, s27, exec_lo
	v_cmp_ge_u64_e32 vcc_lo, v[19:20], v[2:3]
	s_orn2_b32 s41, vcc_lo, exec_lo
	s_branch .LBB0_608
.LBB0_613:                              ;   in Loop: Header=BB0_221 Depth=2
	s_inst_prefetch 0x2
	s_or_b32 exec_lo, exec_lo, s25
	s_and_saveexec_b32 s25, s26
	s_xor_b32 s25, exec_lo, s25
	s_cbranch_execz .LBB0_615
; %bb.614:                              ;   in Loop: Header=BB0_221 Depth=2
	ds_write_b32 v0, v119
	s_trap 2
.LBB0_615:                              ;   in Loop: Header=BB0_221 Depth=2
	s_or_b32 exec_lo, exec_lo, s24
	;;#ASMSTART
	s_wakeup
	;;#ASMEND
.LBB0_616:                              ;   in Loop: Header=BB0_221 Depth=2
	s_or_b32 exec_lo, exec_lo, s23
.LBB0_617:                              ;   in Loop: Header=BB0_221 Depth=2
	s_andn2_saveexec_b32 s12, s12
	s_cbranch_execz .LBB0_619
; %bb.618:                              ;   in Loop: Header=BB0_221 Depth=2
	s_waitcnt vmcnt(0) lgkmcnt(0)
	s_waitcnt_vscnt null, 0x0
	buffer_gl1_inv
	buffer_gl0_inv
	s_barrier
.LBB0_619:                              ;   in Loop: Header=BB0_221 Depth=2
	s_or_b32 exec_lo, exec_lo, s12
	s_or_b32 exec_lo, exec_lo, s11
	s_and_saveexec_b32 s11, s9
	s_cbranch_execnz .LBB0_259
	s_branch .LBB0_260
.LBB0_620:                              ;   in Loop: Header=BB0_44 Depth=1
	v_mov_b32_e32 v21, v70
	v_mov_b32_e32 v22, v71
	s_and_saveexec_b32 s11, s10
	s_cbranch_execnz .LBB0_623
; %bb.621:                              ;   in Loop: Header=BB0_44 Depth=1
	s_or_b32 exec_lo, exec_lo, s11
	s_and_saveexec_b32 s10, s7
	s_cbranch_execnz .LBB0_980
.LBB0_622:                              ;   in Loop: Header=BB0_44 Depth=1
	s_or_b32 exec_lo, exec_lo, s10
	s_and_saveexec_b32 s10, s9
	s_cbranch_execz .LBB0_43
	s_branch .LBB0_998
.LBB0_623:                              ;   in Loop: Header=BB0_44 Depth=1
	flat_load_dword v54, v[23:24]
	v_and_b32_e32 v17, 7, v34
	s_waitcnt vmcnt(1) lgkmcnt(1)
	v_add_co_u32 v19, vcc_lo, v11, v56
	v_add_co_ci_u32_e64 v20, null, v12, v57, vcc_lo
	v_mul_lo_u32 v17, v17, s18
	v_add_nc_u32_e32 v83, 1, v34
	s_mov_b32 s12, 0
	v_ashrrev_i32_e32 v18, 31, v17
	v_lshlrev_b64 v[17:18], 4, v[17:18]
	s_waitcnt vmcnt(0) lgkmcnt(0)
	v_ashrrev_i32_e32 v70, 31, v54
	v_mul_lo_u32 v80, v100, v54
	v_mad_u64_u32 v[19:20], null, v99, v54, v[19:20]
	v_mul_lo_u32 v54, v99, v70
	v_add_co_u32 v70, vcc_lo, v114, v56
	v_add_co_ci_u32_e64 v71, null, v115, v57, vcc_lo
	v_add_co_u32 v84, vcc_lo, v32, v17
	v_add_co_ci_u32_e64 v85, null, v33, v18, vcc_lo
	v_add3_u32 v20, v80, v20, v54
	v_add_co_u32 v86, vcc_lo, v19, v101
	v_mov_b32_e32 v80, v4
	v_add_co_ci_u32_e64 v87, null, 0, v20, vcc_lo
	s_branch .LBB0_625
.LBB0_624:                              ;   in Loop: Header=BB0_625 Depth=2
	v_sub_nc_u32_e32 v46, v46, v103
	v_add_co_u32 v86, vcc_lo, v86, v103
	v_add_co_ci_u32_e64 v87, null, 0, v87, vcc_lo
	v_cmp_gt_i32_e32 vcc_lo, 1, v46
	v_add_co_u32 v70, s10, v70, v103
	v_add_co_ci_u32_e64 v71, null, 0, v71, s10
	v_add_nc_u32_e32 v80, v80, v1
	s_or_b32 s12, vcc_lo, s12
	s_andn2_b32 exec_lo, exec_lo, s12
	s_cbranch_execz .LBB0_979
.LBB0_625:                              ;   Parent Loop BB0_44 Depth=1
                                        ; =>  This Loop Header: Depth=2
                                        ;       Child Loop BB0_633 Depth 3
	v_and_b32_e32 v17, -4, v86
	v_mov_b32_e32 v18, v87
	v_min_u32_e32 v19, 8, v46
	v_and_b32_e32 v20, 3, v86
	v_mov_b32_e32 v97, 0
	v_mov_b32_e32 v56, 0
	global_load_dword v96, v[17:18], off slc
	s_mov_b32 s10, exec_lo
	v_add_nc_u32_e32 v54, v20, v19
	v_cmpx_lt_u32_e32 4, v54
	s_cbranch_execz .LBB0_627
; %bb.626:                              ;   in Loop: Header=BB0_625 Depth=2
	global_load_dword v56, v[17:18], off offset:4 slc
.LBB0_627:                              ;   in Loop: Header=BB0_625 Depth=2
	s_or_b32 exec_lo, exec_lo, s10
	s_mov_b32 s10, exec_lo
	v_cmpx_lt_u64_e32 8, v[54:55]
	s_cbranch_execz .LBB0_629
; %bb.628:                              ;   in Loop: Header=BB0_625 Depth=2
	global_load_dword v97, v[17:18], off offset:8 slc
.LBB0_629:                              ;   in Loop: Header=BB0_625 Depth=2
	s_or_b32 exec_lo, exec_lo, s10
	v_mov_b32_e32 v81, v55
	v_lshlrev_b64 v[17:18], 4, v[80:81]
	v_add_co_u32 v81, vcc_lo, v84, v17
	v_add_co_ci_u32_e64 v82, null, v85, v18, vcc_lo
	v_cmp_eq_u32_e32 vcc_lo, 0, v45
	v_mov_b32_e32 v45, 1
	global_load_dwordx4 v[17:20], v[81:82], off slc
	s_and_saveexec_b32 s22, vcc_lo
	s_cbranch_execz .LBB0_641
; %bb.630:                              ;   in Loop: Header=BB0_625 Depth=2
	s_waitcnt vmcnt(0)
	v_cmp_ne_u32_e32 vcc_lo, v83, v18
	v_cmp_ne_u32_e64 s10, v83, v20
	v_mov_b32_e32 v45, 0
	s_or_b32 s10, vcc_lo, s10
	s_and_saveexec_b32 s23, s10
	s_cbranch_execz .LBB0_640
; %bb.631:                              ;   in Loop: Header=BB0_625 Depth=2
	s_mov_b32 s27, 1
	s_mov_b32 s25, 0
                                        ; implicit-def: $sgpr24
                                        ; implicit-def: $sgpr26
	s_inst_prefetch 0x1
	s_branch .LBB0_633
	.p2align	6
.LBB0_632:                              ;   in Loop: Header=BB0_633 Depth=3
	s_or_b32 exec_lo, exec_lo, s29
	s_and_b32 s10, exec_lo, s10
	s_or_b32 s25, s10, s25
	s_andn2_b32 s10, s24, exec_lo
	s_and_b32 s24, s26, exec_lo
	s_or_b32 s24, s10, s24
	s_andn2_b32 exec_lo, exec_lo, s25
	s_cbranch_execz .LBB0_637
.LBB0_633:                              ;   Parent Loop BB0_44 Depth=1
                                        ;     Parent Loop BB0_625 Depth=2
                                        ; =>    This Inner Loop Header: Depth=3
	global_load_dwordx4 v[17:20], v[81:82], off slc
	s_add_i32 s27, s27, 1
	s_mov_b32 s10, -1
	s_cmpk_lg_i32 s27, 0x2710
	s_mov_b32 s28, -1
                                        ; implicit-def: $vgpr54
	s_cbranch_scc0 .LBB0_635
; %bb.634:                              ;   in Loop: Header=BB0_633 Depth=3
	s_or_b32 s26, s26, exec_lo
	s_and_saveexec_b32 s29, s28
	s_cbranch_execz .LBB0_632
	s_branch .LBB0_636
	.p2align	6
.LBB0_635:                              ;   in Loop: Header=BB0_633 Depth=3
	s_trap 2
	ds_read_b64 v[57:58], v0
	s_mov_b32 s27, 0
	s_waitcnt vmcnt(0) lgkmcnt(0)
	s_waitcnt_vscnt null, 0x0
	flat_load_dword v54, v[57:58] glc dlc
	s_waitcnt vmcnt(0) lgkmcnt(0)
	buffer_gl1_inv
	buffer_gl0_inv
	v_cmp_eq_u32_e32 vcc_lo, 0, v54
	s_orn2_b32 s28, vcc_lo, exec_lo
	s_or_b32 s26, s26, exec_lo
	s_and_saveexec_b32 s29, s28
	s_cbranch_execz .LBB0_632
.LBB0_636:                              ;   in Loop: Header=BB0_633 Depth=3
	s_waitcnt vmcnt(0)
	v_cmp_eq_u32_e32 vcc_lo, v83, v18
	v_cmp_eq_u32_e64 s10, v83, v20
	s_andn2_b32 s26, s26, exec_lo
	s_and_b32 s10, vcc_lo, s10
	s_orn2_b32 s10, s10, exec_lo
	s_branch .LBB0_632
.LBB0_637:                              ;   in Loop: Header=BB0_625 Depth=2
	s_inst_prefetch 0x2
	s_or_b32 exec_lo, exec_lo, s25
	v_mov_b32_e32 v45, 0
	s_and_saveexec_b32 s10, s24
	s_xor_b32 s10, exec_lo, s10
	s_cbranch_execz .LBB0_639
; %bb.638:                              ;   in Loop: Header=BB0_625 Depth=2
	v_mov_b32_e32 v45, 1
	s_waitcnt vmcnt(0)
	s_waitcnt_vscnt null, 0x0
	ds_write_b32 v0, v54
	s_trap 2
.LBB0_639:                              ;   in Loop: Header=BB0_625 Depth=2
	s_or_b32 exec_lo, exec_lo, s10
.LBB0_640:                              ;   in Loop: Header=BB0_625 Depth=2
	s_or_b32 exec_lo, exec_lo, s23
.LBB0_641:                              ;   in Loop: Header=BB0_625 Depth=2
	s_or_b32 exec_lo, exec_lo, s22
	s_waitcnt vmcnt(0)
	v_lshlrev_b32_e32 v18, 3, v86
	s_mov_b32 s10, 0
	v_alignbit_b32 v54, v56, v96, v18
	v_cmp_gt_i16_sdwa s22, v54, v40 src0_sel:BYTE_0 src1_sel:DWORD
	s_and_saveexec_b32 s23, s22
	s_xor_b32 s22, exec_lo, s23
	s_cbranch_execnz .LBB0_883
; %bb.642:                              ;   in Loop: Header=BB0_625 Depth=2
	s_or_saveexec_b32 s22, s22
	v_mov_b32_e32 v20, 0x7f800001
	s_xor_b32 exec_lo, exec_lo, s22
	s_cbranch_execnz .LBB0_886
.LBB0_643:                              ;   in Loop: Header=BB0_625 Depth=2
	s_or_b32 exec_lo, exec_lo, s22
	s_and_saveexec_b32 s22, s10
	s_cbranch_execz .LBB0_645
.LBB0_644:                              ;   in Loop: Header=BB0_625 Depth=2
	v_and_b32_e32 v20, 7, v54
	v_bfe_u32 v96, v54, 3, 4
	v_lshlrev_b32_e32 v47, 24, v54
	v_ffbh_u32_e32 v81, v20
	v_cmp_eq_u32_e32 vcc_lo, 0, v96
	v_min_u32_e32 v81, 32, v81
	v_subrev_nc_u32_e32 v82, 28, v81
	v_sub_nc_u32_e32 v81, 29, v81
	v_lshlrev_b32_e32 v82, v82, v54
	v_cndmask_b32_e32 v81, v96, v81, vcc_lo
	v_and_b32_e32 v82, 7, v82
	v_lshl_add_u32 v81, v81, 23, 0x3b800000
	v_cndmask_b32_e32 v20, v20, v82, vcc_lo
	v_and_b32_e32 v82, 0x80000000, v47
	v_lshlrev_b32_e32 v20, 20, v20
	v_or3_b32 v20, v82, v81, v20
.LBB0_645:                              ;   in Loop: Header=BB0_625 Depth=2
	s_or_b32 exec_lo, exec_lo, s22
	v_mul_f32_e32 v81, v0, v20
	v_and_b32_e32 v20, 0x7f800000, v81
	v_cmp_ne_u32_e32 vcc_lo, 0x7f800000, v20
	v_mov_b32_e32 v20, 0x80
	s_and_saveexec_b32 s22, vcc_lo
	s_cbranch_execz .LBB0_653
; %bb.646:                              ;   in Loop: Header=BB0_625 Depth=2
	v_mov_b32_e32 v20, 0
	s_mov_b32 s23, exec_lo
	v_cmpx_ne_u32_e32 0, v81
	s_cbranch_execz .LBB0_652
; %bb.647:                              ;   in Loop: Header=BB0_625 Depth=2
	v_bfe_u32 v20, v81, 23, 8
	v_and_b32_e32 v82, 0x7fffff, v81
	v_sub_nc_u32_e32 v96, 0x78, v20
	v_cmp_gt_u32_e32 vcc_lo, 0x79, v20
	v_or_b32_e32 v47, 0x800000, v82
	v_cndmask_b32_e32 v96, 0, v96, vcc_lo
	v_cmp_eq_u32_e32 vcc_lo, 0, v20
	v_add_nc_u32_e32 v20, 0xffffff89, v20
	v_cndmask_b32_e64 v96, v96, 0x77, vcc_lo
	v_cndmask_b32_e32 v82, v47, v82, vcc_lo
	v_cndmask_b32_e64 v20, v20, 0xffffff8a, vcc_lo
	v_lshl_add_u32 v47, 0x100000, v96, -1
	v_lshrrev_b32_e32 v57, v96, v82
	v_lshlrev_b32_e64 v59, v96, 0x80000
	v_add_nc_u32_e32 v96, v96, v20
	v_and_b32_e32 v82, v47, v82
	v_bfe_u32 v58, v57, 20, 1
	v_cmp_eq_u32_e64 s10, v82, v59
	v_add_nc_u32_e32 v47, -1, v58
	v_cndmask_b32_e64 v82, 0, v47, s10
	v_lshrrev_b32_e32 v47, 23, v57
	s_mov_b32 s10, exec_lo
	v_add_nc_u32_e32 v82, v82, v57
	v_xor_b32_e32 v47, 1, v47
	v_and_b32_e32 v20, 0xfffff, v82
	v_add_nc_u32_e32 v82, v20, v57
                                        ; implicit-def: $vgpr20
	v_cmpx_ne_u32_e64 v96, v47
	s_xor_b32 s10, exec_lo, s10
; %bb.648:                              ;   in Loop: Header=BB0_625 Depth=2
	v_cmp_lt_u32_e32 vcc_lo, 0xffffff, v82
	v_sub_nc_u32_e32 v20, v96, v47
	v_cndmask_b32_e64 v96, 0, 1, vcc_lo
	v_add_co_ci_u32_e64 v20, null, 0, v20, vcc_lo
	v_lshrrev_b32_e32 v82, v96, v82
; %bb.649:                              ;   in Loop: Header=BB0_625 Depth=2
	s_andn2_saveexec_b32 s10, s10
; %bb.650:                              ;   in Loop: Header=BB0_625 Depth=2
	v_bfe_u32 v20, v82, 23, 1
; %bb.651:                              ;   in Loop: Header=BB0_625 Depth=2
	s_or_b32 exec_lo, exec_lo, s10
	v_lshrrev_b32_e32 v82, 20, v82
	v_min_i32_e32 v96, 15, v20
	v_cmp_gt_i32_e32 vcc_lo, 16, v20
	v_and_b32_sdwa v81, v81, v41 dst_sel:DWORD dst_unused:UNUSED_PAD src0_sel:BYTE_3 src1_sel:DWORD
	v_lshlrev_b32_e32 v96, 3, v96
	v_cndmask_b32_e32 v82, 7, v82, vcc_lo
	v_and_b32_e32 v96, 0xf8, v96
	v_and_b32_e32 v47, 7, v82
	v_or_b32_e32 v20, v20, v82
	v_or3_b32 v81, v96, v81, v47
	v_cmp_ne_u32_e32 vcc_lo, 0, v20
	v_cndmask_b32_e32 v20, 0, v81, vcc_lo
.LBB0_652:                              ;   in Loop: Header=BB0_625 Depth=2
	s_or_b32 exec_lo, exec_lo, s23
.LBB0_653:                              ;   in Loop: Header=BB0_625 Depth=2
	s_or_b32 exec_lo, exec_lo, s22
	v_cmp_gt_i16_sdwa s22, v54, v40 src0_sel:BYTE_1 src1_sel:DWORD
	s_mov_b32 s10, 0
	s_and_saveexec_b32 s23, s22
	s_xor_b32 s22, exec_lo, s23
	s_cbranch_execnz .LBB0_887
; %bb.654:                              ;   in Loop: Header=BB0_625 Depth=2
	s_or_saveexec_b32 s22, s22
	v_mov_b32_e32 v81, 0x7f800001
	s_xor_b32 exec_lo, exec_lo, s22
	s_cbranch_execnz .LBB0_890
.LBB0_655:                              ;   in Loop: Header=BB0_625 Depth=2
	s_or_b32 exec_lo, exec_lo, s22
	s_and_saveexec_b32 s22, s10
	s_cbranch_execz .LBB0_657
.LBB0_656:                              ;   in Loop: Header=BB0_625 Depth=2
	v_and_b32_sdwa v81, v42, v54 dst_sel:DWORD dst_unused:UNUSED_PAD src0_sel:DWORD src1_sel:BYTE_1
	v_and_b32_e32 v82, 7, v81
	v_bfe_u32 v57, v81, 3, 4
	v_ffbh_u32_e32 v96, v82
	v_cmp_eq_u32_e32 vcc_lo, 0, v57
	v_min_u32_e32 v96, 32, v96
	v_subrev_nc_u32_e32 v47, 28, v96
	v_sub_nc_u32_e32 v96, 29, v96
	v_lshlrev_b32_e32 v81, v47, v81
	v_lshlrev_b32_sdwa v47, v43, v54 dst_sel:DWORD dst_unused:UNUSED_PAD src0_sel:DWORD src1_sel:BYTE_1
	v_cndmask_b32_e32 v96, v57, v96, vcc_lo
	v_and_b32_e32 v81, 7, v81
	v_lshl_add_u32 v96, v96, 23, 0x3b800000
	v_cndmask_b32_e32 v81, v82, v81, vcc_lo
	v_and_b32_e32 v82, 0x80000000, v47
	v_lshlrev_b32_e32 v81, 20, v81
	v_or3_b32 v81, v82, v96, v81
.LBB0_657:                              ;   in Loop: Header=BB0_625 Depth=2
	s_or_b32 exec_lo, exec_lo, s22
	v_mul_f32_e32 v81, v0, v81
	v_and_b32_e32 v82, 0x7f800000, v81
	v_cmp_ne_u32_e32 vcc_lo, 0x7f800000, v82
	v_mov_b32_e32 v82, 0x8000
	s_and_saveexec_b32 s22, vcc_lo
	s_cbranch_execz .LBB0_665
; %bb.658:                              ;   in Loop: Header=BB0_625 Depth=2
	v_mov_b32_e32 v82, 0
	s_mov_b32 s23, exec_lo
	v_cmpx_ne_u32_e32 0, v81
	s_cbranch_execz .LBB0_664
; %bb.659:                              ;   in Loop: Header=BB0_625 Depth=2
	v_bfe_u32 v82, v81, 23, 8
	v_and_b32_e32 v96, 0x7fffff, v81
	v_sub_nc_u32_e32 v47, 0x78, v82
	v_cmp_gt_u32_e32 vcc_lo, 0x79, v82
	v_or_b32_e32 v57, 0x800000, v96
	v_cndmask_b32_e32 v47, 0, v47, vcc_lo
	v_cmp_eq_u32_e32 vcc_lo, 0, v82
	v_add_nc_u32_e32 v82, 0xffffff89, v82
	v_cndmask_b32_e64 v47, v47, 0x77, vcc_lo
	v_cndmask_b32_e32 v96, v57, v96, vcc_lo
	v_cndmask_b32_e64 v82, v82, 0xffffff8a, vcc_lo
	v_lshl_add_u32 v57, 0x100000, v47, -1
	v_lshrrev_b32_e32 v58, v47, v96
	v_lshlrev_b32_e64 v60, v47, 0x80000
	v_add_nc_u32_e32 v47, v47, v82
	v_and_b32_e32 v96, v57, v96
	v_bfe_u32 v59, v58, 20, 1
	v_cmp_eq_u32_e64 s10, v96, v60
	v_add_nc_u32_e32 v57, -1, v59
	v_cndmask_b32_e64 v96, 0, v57, s10
	v_lshrrev_b32_e32 v57, 23, v58
	s_mov_b32 s10, exec_lo
	v_add_nc_u32_e32 v96, v96, v58
	v_xor_b32_e32 v57, 1, v57
	v_and_b32_e32 v82, 0xfffff, v96
	v_add_nc_u32_e32 v96, v82, v58
                                        ; implicit-def: $vgpr82
	v_cmpx_ne_u32_e64 v47, v57
	s_xor_b32 s10, exec_lo, s10
; %bb.660:                              ;   in Loop: Header=BB0_625 Depth=2
	v_cmp_lt_u32_e32 vcc_lo, 0xffffff, v96
	v_sub_nc_u32_e32 v82, v47, v57
	v_cndmask_b32_e64 v47, 0, 1, vcc_lo
	v_add_co_ci_u32_e64 v82, null, 0, v82, vcc_lo
	v_lshrrev_b32_e32 v96, v47, v96
; %bb.661:                              ;   in Loop: Header=BB0_625 Depth=2
	s_andn2_saveexec_b32 s10, s10
; %bb.662:                              ;   in Loop: Header=BB0_625 Depth=2
	v_bfe_u32 v82, v96, 23, 1
; %bb.663:                              ;   in Loop: Header=BB0_625 Depth=2
	s_or_b32 exec_lo, exec_lo, s10
	v_lshrrev_b32_e32 v96, 20, v96
	v_min_i32_e32 v47, 15, v82
	v_cmp_gt_i32_e32 vcc_lo, 16, v82
	v_and_b32_sdwa v81, v81, v41 dst_sel:DWORD dst_unused:UNUSED_PAD src0_sel:BYTE_3 src1_sel:DWORD
	v_lshlrev_b32_e32 v47, 3, v47
	v_cndmask_b32_e32 v96, 7, v96, vcc_lo
	v_and_b32_e32 v47, 0xf8, v47
	v_and_b32_e32 v57, 7, v96
	v_or_b32_e32 v82, v82, v96
	v_or3_b32 v81, v81, v47, v57
	v_cmp_ne_u32_e32 vcc_lo, 0, v82
	v_lshlrev_b32_e32 v81, 8, v81
	v_cndmask_b32_e32 v82, 0, v81, vcc_lo
.LBB0_664:                              ;   in Loop: Header=BB0_625 Depth=2
	s_or_b32 exec_lo, exec_lo, s23
.LBB0_665:                              ;   in Loop: Header=BB0_625 Depth=2
	s_or_b32 exec_lo, exec_lo, s22
	v_and_b32_sdwa v96, v54, v44 dst_sel:DWORD dst_unused:UNUSED_PAD src0_sel:WORD_1 src1_sel:DWORD
	s_mov_b32 s10, 0
	s_mov_b32 s22, exec_lo
	v_cmpx_lt_i16_e32 0x7f, v96
	s_xor_b32 s22, exec_lo, s22
	s_cbranch_execnz .LBB0_891
; %bb.666:                              ;   in Loop: Header=BB0_625 Depth=2
	s_or_saveexec_b32 s22, s22
	v_mov_b32_e32 v81, 0x7f800001
	s_xor_b32 exec_lo, exec_lo, s22
	s_cbranch_execnz .LBB0_894
.LBB0_667:                              ;   in Loop: Header=BB0_625 Depth=2
	s_or_b32 exec_lo, exec_lo, s22
	s_and_saveexec_b32 s22, s10
	s_cbranch_execz .LBB0_669
.LBB0_668:                              ;   in Loop: Header=BB0_625 Depth=2
	v_bfe_u32 v81, v54, 16, 3
	v_bfe_u32 v57, v54, 19, 4
	v_lshlrev_b32_e32 v58, 8, v54
	v_ffbh_u32_e32 v96, v81
	v_cmp_eq_u32_e32 vcc_lo, 0, v57
	v_min_u32_e32 v96, 32, v96
	v_subrev_nc_u32_e32 v47, 28, v96
	v_sub_nc_u32_e32 v96, 29, v96
	v_lshlrev_b32_sdwa v47, v47, v54 dst_sel:DWORD dst_unused:UNUSED_PAD src0_sel:DWORD src1_sel:WORD_1
	v_cndmask_b32_e32 v96, v57, v96, vcc_lo
	v_and_b32_e32 v47, 7, v47
	v_lshl_add_u32 v96, v96, 23, 0x3b800000
	v_cndmask_b32_e32 v81, v81, v47, vcc_lo
	v_and_b32_e32 v47, 0x80000000, v58
	v_lshlrev_b32_e32 v81, 20, v81
	v_or3_b32 v81, v47, v96, v81
.LBB0_669:                              ;   in Loop: Header=BB0_625 Depth=2
	s_or_b32 exec_lo, exec_lo, s22
	v_mul_f32_e32 v81, v0, v81
	v_and_b32_e32 v96, 0x7f800000, v81
	v_cmp_ne_u32_e32 vcc_lo, 0x7f800000, v96
	v_mov_b32_e32 v96, 0x80
	s_and_saveexec_b32 s22, vcc_lo
	s_cbranch_execz .LBB0_677
; %bb.670:                              ;   in Loop: Header=BB0_625 Depth=2
	v_mov_b32_e32 v96, 0
	s_mov_b32 s23, exec_lo
	v_cmpx_ne_u32_e32 0, v81
	s_cbranch_execz .LBB0_676
; %bb.671:                              ;   in Loop: Header=BB0_625 Depth=2
	v_bfe_u32 v96, v81, 23, 8
	v_and_b32_e32 v47, 0x7fffff, v81
	v_sub_nc_u32_e32 v57, 0x78, v96
	v_cmp_gt_u32_e32 vcc_lo, 0x79, v96
	v_or_b32_e32 v58, 0x800000, v47
	v_cndmask_b32_e32 v57, 0, v57, vcc_lo
	v_cmp_eq_u32_e32 vcc_lo, 0, v96
	v_add_nc_u32_e32 v96, 0xffffff89, v96
	v_cndmask_b32_e64 v57, v57, 0x77, vcc_lo
	v_cndmask_b32_e32 v47, v58, v47, vcc_lo
	v_cndmask_b32_e64 v96, v96, 0xffffff8a, vcc_lo
	v_lshl_add_u32 v58, 0x100000, v57, -1
	v_lshrrev_b32_e32 v59, v57, v47
	v_lshlrev_b32_e64 v61, v57, 0x80000
	v_add_nc_u32_e32 v57, v57, v96
	v_and_b32_e32 v47, v58, v47
	v_bfe_u32 v60, v59, 20, 1
	v_cmp_eq_u32_e64 s10, v47, v61
	v_add_nc_u32_e32 v58, -1, v60
	v_cndmask_b32_e64 v47, 0, v58, s10
	v_lshrrev_b32_e32 v58, 23, v59
	s_mov_b32 s10, exec_lo
	v_add_nc_u32_e32 v47, v47, v59
	v_xor_b32_e32 v58, 1, v58
	v_and_b32_e32 v96, 0xfffff, v47
	v_add_nc_u32_e32 v47, v96, v59
                                        ; implicit-def: $vgpr96
	v_cmpx_ne_u32_e64 v57, v58
	s_xor_b32 s10, exec_lo, s10
; %bb.672:                              ;   in Loop: Header=BB0_625 Depth=2
	v_cmp_lt_u32_e32 vcc_lo, 0xffffff, v47
	v_sub_nc_u32_e32 v96, v57, v58
	v_cndmask_b32_e64 v57, 0, 1, vcc_lo
	v_add_co_ci_u32_e64 v96, null, 0, v96, vcc_lo
	v_lshrrev_b32_e32 v47, v57, v47
; %bb.673:                              ;   in Loop: Header=BB0_625 Depth=2
	s_andn2_saveexec_b32 s10, s10
; %bb.674:                              ;   in Loop: Header=BB0_625 Depth=2
	v_bfe_u32 v96, v47, 23, 1
; %bb.675:                              ;   in Loop: Header=BB0_625 Depth=2
	s_or_b32 exec_lo, exec_lo, s10
	v_lshrrev_b32_e32 v47, 20, v47
	v_min_i32_e32 v57, 15, v96
	v_cmp_gt_i32_e32 vcc_lo, 16, v96
	v_and_b32_sdwa v81, v81, v41 dst_sel:DWORD dst_unused:UNUSED_PAD src0_sel:BYTE_3 src1_sel:DWORD
	v_lshlrev_b32_e32 v57, 3, v57
	v_cndmask_b32_e32 v47, 7, v47, vcc_lo
	v_and_b32_e32 v57, 0xf8, v57
	v_and_b32_e32 v58, 7, v47
	v_or_b32_e32 v96, v96, v47
	v_or3_b32 v81, v57, v81, v58
	v_cmp_ne_u32_e32 vcc_lo, 0, v96
	v_cndmask_b32_e32 v96, 0, v81, vcc_lo
.LBB0_676:                              ;   in Loop: Header=BB0_625 Depth=2
	s_or_b32 exec_lo, exec_lo, s23
.LBB0_677:                              ;   in Loop: Header=BB0_625 Depth=2
	s_or_b32 exec_lo, exec_lo, s22
	v_cmp_gt_i16_sdwa s22, v54, v40 src0_sel:BYTE_3 src1_sel:DWORD
	s_mov_b32 s10, 0
	s_and_saveexec_b32 s23, s22
	s_xor_b32 s22, exec_lo, s23
	s_cbranch_execnz .LBB0_895
; %bb.678:                              ;   in Loop: Header=BB0_625 Depth=2
	s_or_saveexec_b32 s22, s22
	v_mov_b32_e32 v81, 0x7f800001
	s_xor_b32 exec_lo, exec_lo, s22
	s_cbranch_execnz .LBB0_898
.LBB0_679:                              ;   in Loop: Header=BB0_625 Depth=2
	s_or_b32 exec_lo, exec_lo, s22
	s_and_saveexec_b32 s22, s10
	s_cbranch_execz .LBB0_681
.LBB0_680:                              ;   in Loop: Header=BB0_625 Depth=2
	v_bfe_u32 v81, v54, 24, 3
	v_bfe_u32 v58, v54, 27, 4
	v_ffbh_u32_e32 v47, v81
	v_cmp_eq_u32_e32 vcc_lo, 0, v58
	v_min_u32_e32 v47, 32, v47
	v_subrev_nc_u32_e32 v57, 28, v47
	v_sub_nc_u32_e32 v47, 29, v47
	v_lshlrev_b32_sdwa v57, v57, v54 dst_sel:DWORD dst_unused:UNUSED_PAD src0_sel:DWORD src1_sel:BYTE_3
	v_cndmask_b32_e32 v47, v58, v47, vcc_lo
	v_and_b32_e32 v54, 0x80000000, v54
	v_and_b32_e32 v57, 7, v57
	v_lshl_add_u32 v47, v47, 23, 0x3b800000
	v_cndmask_b32_e32 v81, v81, v57, vcc_lo
	v_lshlrev_b32_e32 v81, 20, v81
	v_or3_b32 v81, v54, v47, v81
.LBB0_681:                              ;   in Loop: Header=BB0_625 Depth=2
	s_or_b32 exec_lo, exec_lo, s22
	v_mul_f32_e32 v54, v0, v81
	v_mov_b32_e32 v47, 0x8000
	s_mov_b32 s22, exec_lo
	v_and_b32_e32 v81, 0x7f800000, v54
	v_cmpx_ne_u32_e32 0x7f800000, v81
	s_cbranch_execz .LBB0_689
; %bb.682:                              ;   in Loop: Header=BB0_625 Depth=2
	v_mov_b32_e32 v47, 0
	s_mov_b32 s23, exec_lo
	v_cmpx_ne_u32_e32 0, v54
	s_cbranch_execz .LBB0_688
; %bb.683:                              ;   in Loop: Header=BB0_625 Depth=2
	v_bfe_u32 v81, v54, 23, 8
	v_and_b32_e32 v47, 0x7fffff, v54
	v_sub_nc_u32_e32 v57, 0x78, v81
	v_cmp_gt_u32_e32 vcc_lo, 0x79, v81
	v_or_b32_e32 v58, 0x800000, v47
	v_cndmask_b32_e32 v57, 0, v57, vcc_lo
	v_cmp_eq_u32_e32 vcc_lo, 0, v81
	v_add_nc_u32_e32 v81, 0xffffff89, v81
	v_cndmask_b32_e64 v57, v57, 0x77, vcc_lo
	v_cndmask_b32_e32 v47, v58, v47, vcc_lo
	v_cndmask_b32_e64 v81, v81, 0xffffff8a, vcc_lo
	v_lshl_add_u32 v58, 0x100000, v57, -1
	v_lshrrev_b32_e32 v59, v57, v47
	v_lshlrev_b32_e64 v61, v57, 0x80000
	v_add_nc_u32_e32 v57, v57, v81
	v_and_b32_e32 v47, v58, v47
	v_bfe_u32 v60, v59, 20, 1
	v_cmp_eq_u32_e64 s10, v47, v61
	v_add_nc_u32_e32 v58, -1, v60
	v_cndmask_b32_e64 v47, 0, v58, s10
	v_lshrrev_b32_e32 v58, 23, v59
	s_mov_b32 s10, exec_lo
	v_add_nc_u32_e32 v47, v47, v59
	v_xor_b32_e32 v58, 1, v58
	v_and_b32_e32 v81, 0xfffff, v47
	v_add_nc_u32_e32 v47, v81, v59
                                        ; implicit-def: $vgpr81
	v_cmpx_ne_u32_e64 v57, v58
	s_xor_b32 s10, exec_lo, s10
; %bb.684:                              ;   in Loop: Header=BB0_625 Depth=2
	v_cmp_lt_u32_e32 vcc_lo, 0xffffff, v47
	v_sub_nc_u32_e32 v81, v57, v58
	v_cndmask_b32_e64 v57, 0, 1, vcc_lo
	v_add_co_ci_u32_e64 v81, null, 0, v81, vcc_lo
	v_lshrrev_b32_e32 v47, v57, v47
; %bb.685:                              ;   in Loop: Header=BB0_625 Depth=2
	s_andn2_saveexec_b32 s10, s10
; %bb.686:                              ;   in Loop: Header=BB0_625 Depth=2
	v_bfe_u32 v81, v47, 23, 1
; %bb.687:                              ;   in Loop: Header=BB0_625 Depth=2
	s_or_b32 exec_lo, exec_lo, s10
	v_lshrrev_b32_e32 v47, 20, v47
	v_min_i32_e32 v57, 15, v81
	v_cmp_gt_i32_e32 vcc_lo, 16, v81
	v_and_b32_sdwa v54, v54, v41 dst_sel:DWORD dst_unused:UNUSED_PAD src0_sel:BYTE_3 src1_sel:DWORD
	v_lshlrev_b32_e32 v57, 3, v57
	v_cndmask_b32_e32 v47, 7, v47, vcc_lo
	v_and_b32_e32 v57, 0xf8, v57
	v_and_b32_e32 v58, 7, v47
	v_or_b32_e32 v81, v81, v47
	v_or3_b32 v54, v54, v57, v58
	v_cmp_ne_u32_e32 vcc_lo, 0, v81
	v_lshlrev_b32_e32 v54, 8, v54
	v_cndmask_b32_e32 v47, 0, v54, vcc_lo
.LBB0_688:                              ;   in Loop: Header=BB0_625 Depth=2
	s_or_b32 exec_lo, exec_lo, s23
.LBB0_689:                              ;   in Loop: Header=BB0_625 Depth=2
	s_or_b32 exec_lo, exec_lo, s22
	v_alignbit_b32 v81, v97, v56, v18
	s_mov_b32 s10, 0
	v_cmp_gt_i16_sdwa s22, v81, v40 src0_sel:BYTE_0 src1_sel:DWORD
	s_and_saveexec_b32 s23, s22
	s_xor_b32 s22, exec_lo, s23
	s_cbranch_execnz .LBB0_899
; %bb.690:                              ;   in Loop: Header=BB0_625 Depth=2
	s_or_saveexec_b32 s22, s22
	v_mov_b32_e32 v18, 0x7f800001
	s_xor_b32 exec_lo, exec_lo, s22
	s_cbranch_execnz .LBB0_902
.LBB0_691:                              ;   in Loop: Header=BB0_625 Depth=2
	s_or_b32 exec_lo, exec_lo, s22
	s_and_saveexec_b32 s22, s10
	s_cbranch_execz .LBB0_693
.LBB0_692:                              ;   in Loop: Header=BB0_625 Depth=2
	v_and_b32_e32 v18, 7, v81
	v_bfe_u32 v56, v81, 3, 4
	v_lshlrev_b32_e32 v57, 24, v81
	v_ffbh_u32_e32 v54, v18
	v_cmp_eq_u32_e32 vcc_lo, 0, v56
	v_min_u32_e32 v54, 32, v54
	v_subrev_nc_u32_e32 v97, 28, v54
	v_sub_nc_u32_e32 v54, 29, v54
	v_lshlrev_b32_e32 v97, v97, v81
	v_cndmask_b32_e32 v54, v56, v54, vcc_lo
	v_and_b32_e32 v97, 7, v97
	v_lshl_add_u32 v54, v54, 23, 0x3b800000
	v_cndmask_b32_e32 v18, v18, v97, vcc_lo
	v_and_b32_e32 v97, 0x80000000, v57
	v_lshlrev_b32_e32 v18, 20, v18
	v_or3_b32 v18, v97, v54, v18
.LBB0_693:                              ;   in Loop: Header=BB0_625 Depth=2
	s_or_b32 exec_lo, exec_lo, s22
	v_mul_f32_e32 v18, v0, v18
	v_and_b32_e32 v54, 0x7f800000, v18
	v_cmp_ne_u32_e32 vcc_lo, 0x7f800000, v54
	v_mov_b32_e32 v54, 0x80
	s_and_saveexec_b32 s22, vcc_lo
	s_cbranch_execz .LBB0_701
; %bb.694:                              ;   in Loop: Header=BB0_625 Depth=2
	v_mov_b32_e32 v54, 0
	s_mov_b32 s23, exec_lo
	v_cmpx_ne_u32_e32 0, v18
	s_cbranch_execz .LBB0_700
; %bb.695:                              ;   in Loop: Header=BB0_625 Depth=2
	v_bfe_u32 v54, v18, 23, 8
	v_and_b32_e32 v97, 0x7fffff, v18
	v_sub_nc_u32_e32 v56, 0x78, v54
	v_cmp_gt_u32_e32 vcc_lo, 0x79, v54
	v_or_b32_e32 v57, 0x800000, v97
	v_cndmask_b32_e32 v56, 0, v56, vcc_lo
	v_cmp_eq_u32_e32 vcc_lo, 0, v54
	v_add_nc_u32_e32 v54, 0xffffff89, v54
	v_cndmask_b32_e64 v56, v56, 0x77, vcc_lo
	v_cndmask_b32_e32 v97, v57, v97, vcc_lo
	v_cndmask_b32_e64 v54, v54, 0xffffff8a, vcc_lo
	v_lshl_add_u32 v57, 0x100000, v56, -1
	v_lshrrev_b32_e32 v58, v56, v97
	v_lshlrev_b32_e64 v60, v56, 0x80000
	v_add_nc_u32_e32 v56, v56, v54
	v_and_b32_e32 v97, v57, v97
	v_bfe_u32 v59, v58, 20, 1
	v_cmp_eq_u32_e64 s10, v97, v60
	v_add_nc_u32_e32 v57, -1, v59
	v_cndmask_b32_e64 v97, 0, v57, s10
	v_lshrrev_b32_e32 v57, 23, v58
	s_mov_b32 s10, exec_lo
	v_add_nc_u32_e32 v97, v97, v58
	v_xor_b32_e32 v57, 1, v57
	v_and_b32_e32 v54, 0xfffff, v97
	v_add_nc_u32_e32 v97, v54, v58
                                        ; implicit-def: $vgpr54
	v_cmpx_ne_u32_e64 v56, v57
	s_xor_b32 s10, exec_lo, s10
; %bb.696:                              ;   in Loop: Header=BB0_625 Depth=2
	v_cmp_lt_u32_e32 vcc_lo, 0xffffff, v97
	v_sub_nc_u32_e32 v54, v56, v57
	v_cndmask_b32_e64 v56, 0, 1, vcc_lo
	v_add_co_ci_u32_e64 v54, null, 0, v54, vcc_lo
	v_lshrrev_b32_e32 v97, v56, v97
; %bb.697:                              ;   in Loop: Header=BB0_625 Depth=2
	s_andn2_saveexec_b32 s10, s10
; %bb.698:                              ;   in Loop: Header=BB0_625 Depth=2
	v_bfe_u32 v54, v97, 23, 1
; %bb.699:                              ;   in Loop: Header=BB0_625 Depth=2
	s_or_b32 exec_lo, exec_lo, s10
	v_lshrrev_b32_e32 v97, 20, v97
	v_min_i32_e32 v56, 15, v54
	v_cmp_gt_i32_e32 vcc_lo, 16, v54
	v_and_b32_sdwa v18, v18, v41 dst_sel:DWORD dst_unused:UNUSED_PAD src0_sel:BYTE_3 src1_sel:DWORD
	v_lshlrev_b32_e32 v56, 3, v56
	v_cndmask_b32_e32 v97, 7, v97, vcc_lo
	v_and_b32_e32 v56, 0xf8, v56
	v_and_b32_e32 v57, 7, v97
	v_or_b32_e32 v54, v54, v97
	v_or3_b32 v18, v56, v18, v57
	v_cmp_ne_u32_e32 vcc_lo, 0, v54
	v_cndmask_b32_e32 v54, 0, v18, vcc_lo
.LBB0_700:                              ;   in Loop: Header=BB0_625 Depth=2
	s_or_b32 exec_lo, exec_lo, s23
.LBB0_701:                              ;   in Loop: Header=BB0_625 Depth=2
	s_or_b32 exec_lo, exec_lo, s22
	v_cmp_gt_i16_sdwa s22, v81, v40 src0_sel:BYTE_1 src1_sel:DWORD
	s_mov_b32 s10, 0
	s_and_saveexec_b32 s23, s22
	s_xor_b32 s22, exec_lo, s23
	s_cbranch_execnz .LBB0_903
; %bb.702:                              ;   in Loop: Header=BB0_625 Depth=2
	s_or_saveexec_b32 s22, s22
	v_mov_b32_e32 v18, 0x7f800001
	s_xor_b32 exec_lo, exec_lo, s22
	s_cbranch_execnz .LBB0_906
.LBB0_703:                              ;   in Loop: Header=BB0_625 Depth=2
	s_or_b32 exec_lo, exec_lo, s22
	s_and_saveexec_b32 s22, s10
	s_cbranch_execz .LBB0_705
.LBB0_704:                              ;   in Loop: Header=BB0_625 Depth=2
	v_and_b32_sdwa v18, v42, v81 dst_sel:DWORD dst_unused:UNUSED_PAD src0_sel:DWORD src1_sel:BYTE_1
	v_and_b32_e32 v97, 7, v18
	v_bfe_u32 v58, v18, 3, 4
	v_ffbh_u32_e32 v56, v97
	v_cmp_eq_u32_e32 vcc_lo, 0, v58
	v_min_u32_e32 v56, 32, v56
	v_subrev_nc_u32_e32 v57, 28, v56
	v_sub_nc_u32_e32 v56, 29, v56
	v_lshlrev_b32_e32 v18, v57, v18
	v_lshlrev_b32_sdwa v57, v43, v81 dst_sel:DWORD dst_unused:UNUSED_PAD src0_sel:DWORD src1_sel:BYTE_1
	v_cndmask_b32_e32 v56, v58, v56, vcc_lo
	v_and_b32_e32 v18, 7, v18
	v_lshl_add_u32 v56, v56, 23, 0x3b800000
	v_cndmask_b32_e32 v18, v97, v18, vcc_lo
	v_and_b32_e32 v97, 0x80000000, v57
	v_lshlrev_b32_e32 v18, 20, v18
	v_or3_b32 v18, v97, v56, v18
.LBB0_705:                              ;   in Loop: Header=BB0_625 Depth=2
	s_or_b32 exec_lo, exec_lo, s22
	v_mul_f32_e32 v18, v0, v18
	v_and_b32_e32 v97, 0x7f800000, v18
	v_cmp_ne_u32_e32 vcc_lo, 0x7f800000, v97
	v_mov_b32_e32 v97, 0x8000
	s_and_saveexec_b32 s22, vcc_lo
	s_cbranch_execz .LBB0_713
; %bb.706:                              ;   in Loop: Header=BB0_625 Depth=2
	v_mov_b32_e32 v97, 0
	s_mov_b32 s23, exec_lo
	v_cmpx_ne_u32_e32 0, v18
	s_cbranch_execz .LBB0_712
; %bb.707:                              ;   in Loop: Header=BB0_625 Depth=2
	v_bfe_u32 v97, v18, 23, 8
	v_and_b32_e32 v56, 0x7fffff, v18
	v_sub_nc_u32_e32 v57, 0x78, v97
	v_cmp_gt_u32_e32 vcc_lo, 0x79, v97
	v_or_b32_e32 v58, 0x800000, v56
	v_cndmask_b32_e32 v57, 0, v57, vcc_lo
	v_cmp_eq_u32_e32 vcc_lo, 0, v97
	v_add_nc_u32_e32 v97, 0xffffff89, v97
	v_cndmask_b32_e64 v57, v57, 0x77, vcc_lo
	v_cndmask_b32_e32 v56, v58, v56, vcc_lo
	v_cndmask_b32_e64 v97, v97, 0xffffff8a, vcc_lo
	v_lshl_add_u32 v58, 0x100000, v57, -1
	v_lshrrev_b32_e32 v59, v57, v56
	v_lshlrev_b32_e64 v61, v57, 0x80000
	v_add_nc_u32_e32 v57, v57, v97
	v_and_b32_e32 v56, v58, v56
	v_bfe_u32 v60, v59, 20, 1
	v_cmp_eq_u32_e64 s10, v56, v61
	v_add_nc_u32_e32 v58, -1, v60
	v_cndmask_b32_e64 v56, 0, v58, s10
	v_lshrrev_b32_e32 v58, 23, v59
	s_mov_b32 s10, exec_lo
	v_add_nc_u32_e32 v56, v56, v59
	v_xor_b32_e32 v58, 1, v58
	v_and_b32_e32 v97, 0xfffff, v56
	v_add_nc_u32_e32 v56, v97, v59
                                        ; implicit-def: $vgpr97
	v_cmpx_ne_u32_e64 v57, v58
	s_xor_b32 s10, exec_lo, s10
; %bb.708:                              ;   in Loop: Header=BB0_625 Depth=2
	v_cmp_lt_u32_e32 vcc_lo, 0xffffff, v56
	v_sub_nc_u32_e32 v97, v57, v58
	v_cndmask_b32_e64 v57, 0, 1, vcc_lo
	v_add_co_ci_u32_e64 v97, null, 0, v97, vcc_lo
	v_lshrrev_b32_e32 v56, v57, v56
; %bb.709:                              ;   in Loop: Header=BB0_625 Depth=2
	s_andn2_saveexec_b32 s10, s10
; %bb.710:                              ;   in Loop: Header=BB0_625 Depth=2
	v_bfe_u32 v97, v56, 23, 1
; %bb.711:                              ;   in Loop: Header=BB0_625 Depth=2
	s_or_b32 exec_lo, exec_lo, s10
	v_lshrrev_b32_e32 v56, 20, v56
	v_min_i32_e32 v57, 15, v97
	v_cmp_gt_i32_e32 vcc_lo, 16, v97
	v_and_b32_sdwa v18, v18, v41 dst_sel:DWORD dst_unused:UNUSED_PAD src0_sel:BYTE_3 src1_sel:DWORD
	v_lshlrev_b32_e32 v57, 3, v57
	v_cndmask_b32_e32 v56, 7, v56, vcc_lo
	v_and_b32_e32 v57, 0xf8, v57
	v_and_b32_e32 v58, 7, v56
	v_or_b32_e32 v97, v97, v56
	v_or3_b32 v18, v18, v57, v58
	v_cmp_ne_u32_e32 vcc_lo, 0, v97
	v_lshlrev_b32_e32 v18, 8, v18
	v_cndmask_b32_e32 v97, 0, v18, vcc_lo
.LBB0_712:                              ;   in Loop: Header=BB0_625 Depth=2
	s_or_b32 exec_lo, exec_lo, s23
.LBB0_713:                              ;   in Loop: Header=BB0_625 Depth=2
	s_or_b32 exec_lo, exec_lo, s22
	v_and_b32_sdwa v56, v81, v44 dst_sel:DWORD dst_unused:UNUSED_PAD src0_sel:WORD_1 src1_sel:DWORD
	s_mov_b32 s10, 0
	s_mov_b32 s22, exec_lo
	v_cmpx_lt_i16_e32 0x7f, v56
	s_xor_b32 s22, exec_lo, s22
	s_cbranch_execnz .LBB0_907
; %bb.714:                              ;   in Loop: Header=BB0_625 Depth=2
	s_or_saveexec_b32 s22, s22
	v_mov_b32_e32 v18, 0x7f800001
	s_xor_b32 exec_lo, exec_lo, s22
	s_cbranch_execnz .LBB0_910
.LBB0_715:                              ;   in Loop: Header=BB0_625 Depth=2
	s_or_b32 exec_lo, exec_lo, s22
	s_and_saveexec_b32 s22, s10
	s_cbranch_execz .LBB0_717
.LBB0_716:                              ;   in Loop: Header=BB0_625 Depth=2
	v_bfe_u32 v18, v81, 16, 3
	v_bfe_u32 v58, v81, 19, 4
	v_lshlrev_b32_e32 v59, 8, v81
	v_ffbh_u32_e32 v56, v18
	v_cmp_eq_u32_e32 vcc_lo, 0, v58
	v_min_u32_e32 v56, 32, v56
	v_subrev_nc_u32_e32 v57, 28, v56
	v_sub_nc_u32_e32 v56, 29, v56
	v_lshlrev_b32_sdwa v57, v57, v81 dst_sel:DWORD dst_unused:UNUSED_PAD src0_sel:DWORD src1_sel:WORD_1
	v_cndmask_b32_e32 v56, v58, v56, vcc_lo
	v_and_b32_e32 v57, 7, v57
	v_lshl_add_u32 v56, v56, 23, 0x3b800000
	v_cndmask_b32_e32 v18, v18, v57, vcc_lo
	v_and_b32_e32 v57, 0x80000000, v59
	v_lshlrev_b32_e32 v18, 20, v18
	v_or3_b32 v18, v57, v56, v18
.LBB0_717:                              ;   in Loop: Header=BB0_625 Depth=2
	s_or_b32 exec_lo, exec_lo, s22
	v_mul_f32_e32 v56, v0, v18
	v_and_b32_e32 v18, 0x7f800000, v56
	v_cmp_ne_u32_e32 vcc_lo, 0x7f800000, v18
	v_mov_b32_e32 v18, 0x80
	s_and_saveexec_b32 s22, vcc_lo
	s_cbranch_execz .LBB0_725
; %bb.718:                              ;   in Loop: Header=BB0_625 Depth=2
	v_mov_b32_e32 v18, 0
	s_mov_b32 s23, exec_lo
	v_cmpx_ne_u32_e32 0, v56
	s_cbranch_execz .LBB0_724
; %bb.719:                              ;   in Loop: Header=BB0_625 Depth=2
	v_bfe_u32 v18, v56, 23, 8
	v_and_b32_e32 v57, 0x7fffff, v56
	v_sub_nc_u32_e32 v58, 0x78, v18
	v_cmp_gt_u32_e32 vcc_lo, 0x79, v18
	v_or_b32_e32 v59, 0x800000, v57
	v_cndmask_b32_e32 v58, 0, v58, vcc_lo
	v_cmp_eq_u32_e32 vcc_lo, 0, v18
	v_add_nc_u32_e32 v18, 0xffffff89, v18
	v_cndmask_b32_e64 v58, v58, 0x77, vcc_lo
	v_cndmask_b32_e32 v57, v59, v57, vcc_lo
	v_cndmask_b32_e64 v18, v18, 0xffffff8a, vcc_lo
	v_lshl_add_u32 v59, 0x100000, v58, -1
	v_lshrrev_b32_e32 v60, v58, v57
	v_lshlrev_b32_e64 v62, v58, 0x80000
	v_add_nc_u32_e32 v58, v58, v18
	v_and_b32_e32 v57, v59, v57
	v_bfe_u32 v61, v60, 20, 1
	v_cmp_eq_u32_e64 s10, v57, v62
	v_add_nc_u32_e32 v59, -1, v61
	v_cndmask_b32_e64 v57, 0, v59, s10
	v_lshrrev_b32_e32 v59, 23, v60
	s_mov_b32 s10, exec_lo
	v_add_nc_u32_e32 v57, v57, v60
	v_xor_b32_e32 v59, 1, v59
	v_and_b32_e32 v18, 0xfffff, v57
	v_add_nc_u32_e32 v57, v18, v60
                                        ; implicit-def: $vgpr18
	v_cmpx_ne_u32_e64 v58, v59
	s_xor_b32 s10, exec_lo, s10
; %bb.720:                              ;   in Loop: Header=BB0_625 Depth=2
	v_cmp_lt_u32_e32 vcc_lo, 0xffffff, v57
	v_sub_nc_u32_e32 v18, v58, v59
	v_cndmask_b32_e64 v58, 0, 1, vcc_lo
	v_add_co_ci_u32_e64 v18, null, 0, v18, vcc_lo
	v_lshrrev_b32_e32 v57, v58, v57
; %bb.721:                              ;   in Loop: Header=BB0_625 Depth=2
	s_andn2_saveexec_b32 s10, s10
; %bb.722:                              ;   in Loop: Header=BB0_625 Depth=2
	v_bfe_u32 v18, v57, 23, 1
; %bb.723:                              ;   in Loop: Header=BB0_625 Depth=2
	s_or_b32 exec_lo, exec_lo, s10
	v_lshrrev_b32_e32 v57, 20, v57
	v_min_i32_e32 v58, 15, v18
	v_cmp_gt_i32_e32 vcc_lo, 16, v18
	v_and_b32_sdwa v56, v56, v41 dst_sel:DWORD dst_unused:UNUSED_PAD src0_sel:BYTE_3 src1_sel:DWORD
	v_lshlrev_b32_e32 v58, 3, v58
	v_cndmask_b32_e32 v57, 7, v57, vcc_lo
	v_and_b32_e32 v58, 0xf8, v58
	v_and_b32_e32 v59, 7, v57
	v_or_b32_e32 v18, v18, v57
	v_or3_b32 v56, v58, v56, v59
	v_cmp_ne_u32_e32 vcc_lo, 0, v18
	v_cndmask_b32_e32 v18, 0, v56, vcc_lo
.LBB0_724:                              ;   in Loop: Header=BB0_625 Depth=2
	s_or_b32 exec_lo, exec_lo, s23
.LBB0_725:                              ;   in Loop: Header=BB0_625 Depth=2
	s_or_b32 exec_lo, exec_lo, s22
	v_cmp_gt_i16_sdwa s22, v81, v40 src0_sel:BYTE_3 src1_sel:DWORD
	s_mov_b32 s10, 0
	s_and_saveexec_b32 s23, s22
	s_xor_b32 s22, exec_lo, s23
	s_cbranch_execnz .LBB0_911
; %bb.726:                              ;   in Loop: Header=BB0_625 Depth=2
	s_or_saveexec_b32 s22, s22
	v_mov_b32_e32 v56, 0x7f800001
	s_xor_b32 exec_lo, exec_lo, s22
	s_cbranch_execnz .LBB0_914
.LBB0_727:                              ;   in Loop: Header=BB0_625 Depth=2
	s_or_b32 exec_lo, exec_lo, s22
	s_and_saveexec_b32 s22, s10
	s_cbranch_execz .LBB0_729
.LBB0_728:                              ;   in Loop: Header=BB0_625 Depth=2
	v_bfe_u32 v56, v81, 24, 3
	v_bfe_u32 v59, v81, 27, 4
	v_ffbh_u32_e32 v57, v56
	v_cmp_eq_u32_e32 vcc_lo, 0, v59
	v_min_u32_e32 v57, 32, v57
	v_subrev_nc_u32_e32 v58, 28, v57
	v_sub_nc_u32_e32 v57, 29, v57
	v_lshlrev_b32_sdwa v58, v58, v81 dst_sel:DWORD dst_unused:UNUSED_PAD src0_sel:DWORD src1_sel:BYTE_3
	v_cndmask_b32_e32 v57, v59, v57, vcc_lo
	v_and_b32_e32 v81, 0x80000000, v81
	v_and_b32_e32 v58, 7, v58
	v_lshl_add_u32 v57, v57, 23, 0x3b800000
	v_cndmask_b32_e32 v56, v56, v58, vcc_lo
	v_lshlrev_b32_e32 v56, 20, v56
	v_or3_b32 v56, v81, v57, v56
.LBB0_729:                              ;   in Loop: Header=BB0_625 Depth=2
	s_or_b32 exec_lo, exec_lo, s22
	v_mul_f32_e32 v56, v0, v56
	v_and_b32_e32 v81, 0x7f800000, v56
	v_cmp_ne_u32_e32 vcc_lo, 0x7f800000, v81
	v_mov_b32_e32 v81, 0x8000
	s_and_saveexec_b32 s22, vcc_lo
	s_cbranch_execz .LBB0_737
; %bb.730:                              ;   in Loop: Header=BB0_625 Depth=2
	v_mov_b32_e32 v81, 0
	s_mov_b32 s23, exec_lo
	v_cmpx_ne_u32_e32 0, v56
	s_cbranch_execz .LBB0_736
; %bb.731:                              ;   in Loop: Header=BB0_625 Depth=2
	v_bfe_u32 v81, v56, 23, 8
	v_and_b32_e32 v57, 0x7fffff, v56
	v_sub_nc_u32_e32 v58, 0x78, v81
	v_cmp_gt_u32_e32 vcc_lo, 0x79, v81
	v_or_b32_e32 v59, 0x800000, v57
	v_cndmask_b32_e32 v58, 0, v58, vcc_lo
	v_cmp_eq_u32_e32 vcc_lo, 0, v81
	v_add_nc_u32_e32 v81, 0xffffff89, v81
	v_cndmask_b32_e64 v58, v58, 0x77, vcc_lo
	v_cndmask_b32_e32 v57, v59, v57, vcc_lo
	v_cndmask_b32_e64 v81, v81, 0xffffff8a, vcc_lo
	v_lshl_add_u32 v59, 0x100000, v58, -1
	v_lshrrev_b32_e32 v60, v58, v57
	v_lshlrev_b32_e64 v62, v58, 0x80000
	v_add_nc_u32_e32 v58, v58, v81
	v_and_b32_e32 v57, v59, v57
	v_bfe_u32 v61, v60, 20, 1
	v_cmp_eq_u32_e64 s10, v57, v62
	v_add_nc_u32_e32 v59, -1, v61
	v_cndmask_b32_e64 v57, 0, v59, s10
	v_lshrrev_b32_e32 v59, 23, v60
	s_mov_b32 s10, exec_lo
	v_add_nc_u32_e32 v57, v57, v60
	v_xor_b32_e32 v59, 1, v59
	v_and_b32_e32 v81, 0xfffff, v57
	v_add_nc_u32_e32 v57, v81, v60
                                        ; implicit-def: $vgpr81
	v_cmpx_ne_u32_e64 v58, v59
	s_xor_b32 s10, exec_lo, s10
; %bb.732:                              ;   in Loop: Header=BB0_625 Depth=2
	v_cmp_lt_u32_e32 vcc_lo, 0xffffff, v57
	v_sub_nc_u32_e32 v81, v58, v59
	v_cndmask_b32_e64 v58, 0, 1, vcc_lo
	v_add_co_ci_u32_e64 v81, null, 0, v81, vcc_lo
	v_lshrrev_b32_e32 v57, v58, v57
; %bb.733:                              ;   in Loop: Header=BB0_625 Depth=2
	s_andn2_saveexec_b32 s10, s10
; %bb.734:                              ;   in Loop: Header=BB0_625 Depth=2
	v_bfe_u32 v81, v57, 23, 1
; %bb.735:                              ;   in Loop: Header=BB0_625 Depth=2
	s_or_b32 exec_lo, exec_lo, s10
	v_lshrrev_b32_e32 v57, 20, v57
	v_min_i32_e32 v58, 15, v81
	v_cmp_gt_i32_e32 vcc_lo, 16, v81
	v_and_b32_sdwa v56, v56, v41 dst_sel:DWORD dst_unused:UNUSED_PAD src0_sel:BYTE_3 src1_sel:DWORD
	v_lshlrev_b32_e32 v58, 3, v58
	v_cndmask_b32_e32 v57, 7, v57, vcc_lo
	v_and_b32_e32 v58, 0xf8, v58
	v_and_b32_e32 v59, 7, v57
	v_or_b32_e32 v81, v81, v57
	v_or3_b32 v56, v56, v58, v59
	v_cmp_ne_u32_e32 vcc_lo, 0, v81
	v_lshlrev_b32_e32 v56, 8, v56
	v_cndmask_b32_e32 v81, 0, v56, vcc_lo
.LBB0_736:                              ;   in Loop: Header=BB0_625 Depth=2
	s_or_b32 exec_lo, exec_lo, s23
.LBB0_737:                              ;   in Loop: Header=BB0_625 Depth=2
	s_or_b32 exec_lo, exec_lo, s22
	v_cmp_gt_i16_sdwa s22, v17, v40 src0_sel:BYTE_0 src1_sel:DWORD
	s_mov_b32 s10, 0
	s_and_saveexec_b32 s23, s22
	s_xor_b32 s22, exec_lo, s23
	s_cbranch_execnz .LBB0_915
; %bb.738:                              ;   in Loop: Header=BB0_625 Depth=2
	s_or_saveexec_b32 s22, s22
	v_mov_b32_e32 v57, 0x7f800001
	s_xor_b32 exec_lo, exec_lo, s22
	s_cbranch_execnz .LBB0_918
.LBB0_739:                              ;   in Loop: Header=BB0_625 Depth=2
	s_or_b32 exec_lo, exec_lo, s22
	s_and_saveexec_b32 s22, s10
	s_cbranch_execz .LBB0_741
.LBB0_740:                              ;   in Loop: Header=BB0_625 Depth=2
	v_and_b32_e32 v56, 7, v17
	v_bfe_u32 v59, v17, 3, 4
	v_lshlrev_b32_e32 v60, 24, v17
	v_ffbh_u32_e32 v57, v56
	v_cmp_eq_u32_e32 vcc_lo, 0, v59
	v_min_u32_e32 v57, 32, v57
	v_subrev_nc_u32_e32 v58, 28, v57
	v_sub_nc_u32_e32 v57, 29, v57
	v_lshlrev_b32_e32 v58, v58, v17
	v_cndmask_b32_e32 v57, v59, v57, vcc_lo
	v_and_b32_e32 v58, 7, v58
	v_lshl_add_u32 v57, v57, 23, 0x3b800000
	v_cndmask_b32_e32 v56, v56, v58, vcc_lo
	v_and_b32_e32 v58, 0x80000000, v60
	v_lshlrev_b32_e32 v56, 20, v56
	v_or3_b32 v57, v58, v57, v56
.LBB0_741:                              ;   in Loop: Header=BB0_625 Depth=2
	s_or_b32 exec_lo, exec_lo, s22
	v_or_b32_e32 v56, v82, v20
	s_mov_b32 s10, 0
	v_cmp_gt_i16_sdwa s22, v56, v40 src0_sel:BYTE_0 src1_sel:DWORD
	s_and_saveexec_b32 s23, s22
	s_xor_b32 s22, exec_lo, s23
	s_cbranch_execnz .LBB0_919
; %bb.742:                              ;   in Loop: Header=BB0_625 Depth=2
	s_or_saveexec_b32 s22, s22
	v_mov_b32_e32 v20, 0x7f800001
	s_xor_b32 exec_lo, exec_lo, s22
	s_cbranch_execnz .LBB0_922
.LBB0_743:                              ;   in Loop: Header=BB0_625 Depth=2
	s_or_b32 exec_lo, exec_lo, s22
	s_and_saveexec_b32 s22, s10
	s_cbranch_execz .LBB0_745
.LBB0_744:                              ;   in Loop: Header=BB0_625 Depth=2
	v_and_b32_e32 v20, 7, v56
	v_bfe_u32 v59, v56, 3, 4
	v_lshlrev_b32_e32 v60, 24, v56
	v_ffbh_u32_e32 v82, v20
	v_cmp_eq_u32_e32 vcc_lo, 0, v59
	v_min_u32_e32 v82, 32, v82
	v_subrev_nc_u32_e32 v58, 28, v82
	v_sub_nc_u32_e32 v82, 29, v82
	v_lshlrev_b32_e32 v58, v58, v56
	v_cndmask_b32_e32 v82, v59, v82, vcc_lo
	v_and_b32_e32 v58, 7, v58
	v_lshl_add_u32 v82, v82, 23, 0x3b800000
	v_cndmask_b32_e32 v20, v20, v58, vcc_lo
	v_and_b32_e32 v58, 0x80000000, v60
	v_lshlrev_b32_e32 v20, 20, v20
	v_or3_b32 v20, v58, v82, v20
.LBB0_745:                              ;   in Loop: Header=BB0_625 Depth=2
	s_or_b32 exec_lo, exec_lo, s22
	v_add_f32_e32 v82, v57, v20
	v_and_b32_e32 v20, 0x7f800000, v82
	v_cmp_ne_u32_e32 vcc_lo, 0x7f800000, v20
	v_mov_b32_e32 v20, 0x80
	s_and_saveexec_b32 s22, vcc_lo
	s_cbranch_execz .LBB0_753
; %bb.746:                              ;   in Loop: Header=BB0_625 Depth=2
	v_mov_b32_e32 v20, 0
	s_mov_b32 s23, exec_lo
	v_cmpx_ne_u32_e32 0, v82
	s_cbranch_execz .LBB0_752
; %bb.747:                              ;   in Loop: Header=BB0_625 Depth=2
	v_bfe_u32 v20, v82, 23, 8
	v_and_b32_e32 v57, 0x7fffff, v82
	v_sub_nc_u32_e32 v58, 0x78, v20
	v_cmp_gt_u32_e32 vcc_lo, 0x79, v20
	v_or_b32_e32 v59, 0x800000, v57
	v_cndmask_b32_e32 v58, 0, v58, vcc_lo
	v_cmp_eq_u32_e32 vcc_lo, 0, v20
	v_add_nc_u32_e32 v20, 0xffffff89, v20
	v_cndmask_b32_e64 v58, v58, 0x77, vcc_lo
	v_cndmask_b32_e32 v57, v59, v57, vcc_lo
	v_cndmask_b32_e64 v20, v20, 0xffffff8a, vcc_lo
	v_lshl_add_u32 v59, 0x100000, v58, -1
	v_lshrrev_b32_e32 v60, v58, v57
	v_lshlrev_b32_e64 v62, v58, 0x80000
	v_add_nc_u32_e32 v58, v58, v20
	v_and_b32_e32 v57, v59, v57
	v_bfe_u32 v61, v60, 20, 1
	v_cmp_eq_u32_e64 s10, v57, v62
	v_add_nc_u32_e32 v59, -1, v61
	v_cndmask_b32_e64 v57, 0, v59, s10
	v_lshrrev_b32_e32 v59, 23, v60
	s_mov_b32 s10, exec_lo
	v_add_nc_u32_e32 v57, v57, v60
	v_xor_b32_e32 v59, 1, v59
	v_and_b32_e32 v20, 0xfffff, v57
	v_add_nc_u32_e32 v57, v20, v60
                                        ; implicit-def: $vgpr20
	v_cmpx_ne_u32_e64 v58, v59
	s_xor_b32 s10, exec_lo, s10
; %bb.748:                              ;   in Loop: Header=BB0_625 Depth=2
	v_cmp_lt_u32_e32 vcc_lo, 0xffffff, v57
	v_sub_nc_u32_e32 v20, v58, v59
	v_cndmask_b32_e64 v58, 0, 1, vcc_lo
	v_add_co_ci_u32_e64 v20, null, 0, v20, vcc_lo
	v_lshrrev_b32_e32 v57, v58, v57
; %bb.749:                              ;   in Loop: Header=BB0_625 Depth=2
	s_andn2_saveexec_b32 s10, s10
; %bb.750:                              ;   in Loop: Header=BB0_625 Depth=2
	v_bfe_u32 v20, v57, 23, 1
; %bb.751:                              ;   in Loop: Header=BB0_625 Depth=2
	s_or_b32 exec_lo, exec_lo, s10
	v_lshrrev_b32_e32 v57, 20, v57
	v_min_i32_e32 v58, 15, v20
	v_cmp_gt_i32_e32 vcc_lo, 16, v20
	v_and_b32_sdwa v82, v82, v41 dst_sel:DWORD dst_unused:UNUSED_PAD src0_sel:BYTE_3 src1_sel:DWORD
	v_lshlrev_b32_e32 v58, 3, v58
	v_cndmask_b32_e32 v57, 7, v57, vcc_lo
	v_and_b32_e32 v58, 0xf8, v58
	v_and_b32_e32 v59, 7, v57
	v_or_b32_e32 v20, v20, v57
	v_or3_b32 v82, v58, v82, v59
	v_cmp_ne_u32_e32 vcc_lo, 0, v20
	v_cndmask_b32_e32 v20, 0, v82, vcc_lo
.LBB0_752:                              ;   in Loop: Header=BB0_625 Depth=2
	s_or_b32 exec_lo, exec_lo, s23
.LBB0_753:                              ;   in Loop: Header=BB0_625 Depth=2
	s_or_b32 exec_lo, exec_lo, s22
	v_cmp_gt_i16_sdwa s22, v17, v40 src0_sel:BYTE_1 src1_sel:DWORD
	s_mov_b32 s10, 0
	s_and_saveexec_b32 s23, s22
	s_xor_b32 s22, exec_lo, s23
	s_cbranch_execnz .LBB0_923
; %bb.754:                              ;   in Loop: Header=BB0_625 Depth=2
	s_or_saveexec_b32 s22, s22
	v_mov_b32_e32 v82, 0x7f800001
	s_xor_b32 exec_lo, exec_lo, s22
	s_cbranch_execnz .LBB0_926
.LBB0_755:                              ;   in Loop: Header=BB0_625 Depth=2
	s_or_b32 exec_lo, exec_lo, s22
	s_and_saveexec_b32 s22, s10
	s_cbranch_execz .LBB0_757
.LBB0_756:                              ;   in Loop: Header=BB0_625 Depth=2
	v_and_b32_sdwa v82, v42, v17 dst_sel:DWORD dst_unused:UNUSED_PAD src0_sel:DWORD src1_sel:BYTE_1
	v_and_b32_e32 v57, 7, v82
	v_bfe_u32 v60, v82, 3, 4
	v_ffbh_u32_e32 v58, v57
	v_cmp_eq_u32_e32 vcc_lo, 0, v60
	v_min_u32_e32 v58, 32, v58
	v_subrev_nc_u32_e32 v59, 28, v58
	v_sub_nc_u32_e32 v58, 29, v58
	v_lshlrev_b32_e32 v82, v59, v82
	v_lshlrev_b32_sdwa v59, v43, v17 dst_sel:DWORD dst_unused:UNUSED_PAD src0_sel:DWORD src1_sel:BYTE_1
	v_cndmask_b32_e32 v58, v60, v58, vcc_lo
	v_and_b32_e32 v82, 7, v82
	v_lshl_add_u32 v58, v58, 23, 0x3b800000
	v_cndmask_b32_e32 v82, v57, v82, vcc_lo
	v_and_b32_e32 v57, 0x80000000, v59
	v_lshlrev_b32_e32 v82, 20, v82
	v_or3_b32 v82, v57, v58, v82
.LBB0_757:                              ;   in Loop: Header=BB0_625 Depth=2
	s_or_b32 exec_lo, exec_lo, s22
	v_cmp_gt_i16_sdwa s22, v56, v40 src0_sel:BYTE_1 src1_sel:DWORD
	s_mov_b32 s10, 0
	s_and_saveexec_b32 s23, s22
	s_xor_b32 s22, exec_lo, s23
	s_cbranch_execnz .LBB0_927
; %bb.758:                              ;   in Loop: Header=BB0_625 Depth=2
	s_or_saveexec_b32 s22, s22
	v_mov_b32_e32 v57, 0x7f800001
	s_xor_b32 exec_lo, exec_lo, s22
	s_cbranch_execnz .LBB0_930
.LBB0_759:                              ;   in Loop: Header=BB0_625 Depth=2
	s_or_b32 exec_lo, exec_lo, s22
	s_and_saveexec_b32 s22, s10
	s_cbranch_execz .LBB0_761
.LBB0_760:                              ;   in Loop: Header=BB0_625 Depth=2
	v_and_b32_sdwa v57, v42, v56 dst_sel:DWORD dst_unused:UNUSED_PAD src0_sel:DWORD src1_sel:BYTE_1
	v_and_b32_e32 v58, 7, v57
	v_bfe_u32 v61, v57, 3, 4
	v_ffbh_u32_e32 v59, v58
	v_cmp_eq_u32_e32 vcc_lo, 0, v61
	v_min_u32_e32 v59, 32, v59
	v_subrev_nc_u32_e32 v60, 28, v59
	v_sub_nc_u32_e32 v59, 29, v59
	v_lshlrev_b32_e32 v57, v60, v57
	v_lshlrev_b32_sdwa v60, v43, v56 dst_sel:DWORD dst_unused:UNUSED_PAD src0_sel:DWORD src1_sel:BYTE_1
	v_cndmask_b32_e32 v59, v61, v59, vcc_lo
	v_and_b32_e32 v57, 7, v57
	v_lshl_add_u32 v59, v59, 23, 0x3b800000
	v_cndmask_b32_e32 v57, v58, v57, vcc_lo
	v_and_b32_e32 v58, 0x80000000, v60
	v_lshlrev_b32_e32 v57, 20, v57
	v_or3_b32 v57, v58, v59, v57
.LBB0_761:                              ;   in Loop: Header=BB0_625 Depth=2
	s_or_b32 exec_lo, exec_lo, s22
	v_add_f32_e32 v57, v82, v57
	v_and_b32_e32 v82, 0x7f800000, v57
	v_cmp_ne_u32_e32 vcc_lo, 0x7f800000, v82
	v_mov_b32_e32 v82, 0x8000
	s_and_saveexec_b32 s22, vcc_lo
	s_cbranch_execz .LBB0_769
; %bb.762:                              ;   in Loop: Header=BB0_625 Depth=2
	v_mov_b32_e32 v82, 0
	s_mov_b32 s23, exec_lo
	v_cmpx_ne_u32_e32 0, v57
	s_cbranch_execz .LBB0_768
; %bb.763:                              ;   in Loop: Header=BB0_625 Depth=2
	v_bfe_u32 v58, v57, 23, 8
	v_and_b32_e32 v82, 0x7fffff, v57
	v_cmp_gt_u32_e64 s10, 0x79, v58
	v_sub_nc_u32_e32 v59, 0x78, v58
	v_cmp_eq_u32_e32 vcc_lo, 0, v58
	v_or_b32_e32 v60, 0x800000, v82
	v_add_nc_u32_e32 v58, 0xffffff89, v58
	v_cndmask_b32_e64 v59, 0, v59, s10
	v_cndmask_b32_e32 v82, v60, v82, vcc_lo
	v_cndmask_b32_e64 v58, v58, 0xffffff8a, vcc_lo
	v_cndmask_b32_e64 v59, v59, 0x77, vcc_lo
	v_lshl_add_u32 v60, 0x100000, v59, -1
	v_lshlrev_b32_e64 v61, v59, 0x80000
	v_and_b32_e32 v60, v60, v82
	v_lshrrev_b32_e32 v82, v59, v82
	v_add_nc_u32_e32 v59, v59, v58
	v_cmp_eq_u32_e64 s10, v60, v61
	v_lshrrev_b32_e32 v58, 23, v82
	v_xor_b32_e32 v60, 1, v58
	v_bfe_u32 v58, v82, 20, 1
	v_add_nc_u32_e32 v58, -1, v58
	v_cndmask_b32_e64 v58, 0, v58, s10
	s_mov_b32 s10, exec_lo
	v_add_nc_u32_e32 v58, v58, v82
	v_and_b32_e32 v58, 0xfffff, v58
	v_add_nc_u32_e32 v58, v58, v82
                                        ; implicit-def: $vgpr82
	v_cmpx_ne_u32_e64 v59, v60
	s_xor_b32 s10, exec_lo, s10
; %bb.764:                              ;   in Loop: Header=BB0_625 Depth=2
	v_cmp_lt_u32_e32 vcc_lo, 0xffffff, v58
	v_sub_nc_u32_e32 v82, v59, v60
	v_cndmask_b32_e64 v59, 0, 1, vcc_lo
	v_add_co_ci_u32_e64 v82, null, 0, v82, vcc_lo
	v_lshrrev_b32_e32 v58, v59, v58
; %bb.765:                              ;   in Loop: Header=BB0_625 Depth=2
	s_andn2_saveexec_b32 s10, s10
; %bb.766:                              ;   in Loop: Header=BB0_625 Depth=2
	v_bfe_u32 v82, v58, 23, 1
; %bb.767:                              ;   in Loop: Header=BB0_625 Depth=2
	s_or_b32 exec_lo, exec_lo, s10
	v_lshrrev_b32_e32 v58, 20, v58
	v_min_i32_e32 v59, 15, v82
	v_cmp_gt_i32_e32 vcc_lo, 16, v82
	v_and_b32_sdwa v57, v57, v41 dst_sel:DWORD dst_unused:UNUSED_PAD src0_sel:BYTE_3 src1_sel:DWORD
	v_lshlrev_b32_e32 v59, 3, v59
	v_cndmask_b32_e32 v58, 7, v58, vcc_lo
	v_and_b32_e32 v59, 0xf8, v59
	v_and_b32_e32 v60, 7, v58
	v_or_b32_e32 v82, v82, v58
	v_or3_b32 v57, v57, v59, v60
	v_cmp_ne_u32_e32 vcc_lo, 0, v82
	v_lshlrev_b32_e32 v57, 8, v57
	v_cndmask_b32_e32 v82, 0, v57, vcc_lo
.LBB0_768:                              ;   in Loop: Header=BB0_625 Depth=2
	s_or_b32 exec_lo, exec_lo, s23
.LBB0_769:                              ;   in Loop: Header=BB0_625 Depth=2
	s_or_b32 exec_lo, exec_lo, s22
	v_and_b32_sdwa v58, v17, v44 dst_sel:DWORD dst_unused:UNUSED_PAD src0_sel:WORD_1 src1_sel:DWORD
	s_mov_b32 s10, 0
	s_mov_b32 s22, exec_lo
	v_cmpx_lt_i16_e32 0x7f, v58
	s_xor_b32 s22, exec_lo, s22
	s_cbranch_execnz .LBB0_931
; %bb.770:                              ;   in Loop: Header=BB0_625 Depth=2
	s_or_saveexec_b32 s22, s22
	v_mov_b32_e32 v57, 0x7f800001
	s_xor_b32 exec_lo, exec_lo, s22
	s_cbranch_execnz .LBB0_934
.LBB0_771:                              ;   in Loop: Header=BB0_625 Depth=2
	s_or_b32 exec_lo, exec_lo, s22
	s_and_saveexec_b32 s22, s10
	s_cbranch_execz .LBB0_773
.LBB0_772:                              ;   in Loop: Header=BB0_625 Depth=2
	v_bfe_u32 v57, v17, 16, 3
	v_bfe_u32 v60, v17, 19, 4
	v_lshlrev_b32_e32 v61, 8, v17
	v_ffbh_u32_e32 v58, v57
	v_cmp_eq_u32_e32 vcc_lo, 0, v60
	v_min_u32_e32 v58, 32, v58
	v_subrev_nc_u32_e32 v59, 28, v58
	v_sub_nc_u32_e32 v58, 29, v58
	v_lshlrev_b32_sdwa v59, v59, v17 dst_sel:DWORD dst_unused:UNUSED_PAD src0_sel:DWORD src1_sel:WORD_1
	v_cndmask_b32_e32 v58, v60, v58, vcc_lo
	v_and_b32_e32 v59, 7, v59
	v_lshl_add_u32 v58, v58, 23, 0x3b800000
	v_cndmask_b32_e32 v57, v57, v59, vcc_lo
	v_and_b32_e32 v59, 0x80000000, v61
	v_lshlrev_b32_e32 v57, 20, v57
	v_or3_b32 v57, v59, v58, v57
.LBB0_773:                              ;   in Loop: Header=BB0_625 Depth=2
	s_or_b32 exec_lo, exec_lo, s22
	v_or_b32_e32 v96, v47, v96
	s_mov_b32 s10, 0
	v_cmp_gt_i16_sdwa s22, v96, v40 src0_sel:BYTE_0 src1_sel:DWORD
	s_and_saveexec_b32 s23, s22
	s_xor_b32 s22, exec_lo, s23
	s_cbranch_execnz .LBB0_935
; %bb.774:                              ;   in Loop: Header=BB0_625 Depth=2
	s_or_saveexec_b32 s22, s22
	v_mov_b32_e32 v58, 0x7f800001
	s_xor_b32 exec_lo, exec_lo, s22
	s_cbranch_execnz .LBB0_938
.LBB0_775:                              ;   in Loop: Header=BB0_625 Depth=2
	s_or_b32 exec_lo, exec_lo, s22
	v_lshl_or_b32 v47, v96, 16, v56
	s_and_saveexec_b32 s22, s10
	s_cbranch_execz .LBB0_777
.LBB0_776:                              ;   in Loop: Header=BB0_625 Depth=2
	v_bfe_u32 v96, v47, 16, 3
	v_bfe_u32 v59, v47, 19, 4
	v_lshlrev_b32_e32 v60, 8, v47
	v_ffbh_u32_e32 v56, v96
	v_cmp_eq_u32_e32 vcc_lo, 0, v59
	v_min_u32_e32 v56, 32, v56
	v_subrev_nc_u32_e32 v58, 28, v56
	v_sub_nc_u32_e32 v56, 29, v56
	v_lshlrev_b32_sdwa v58, v58, v47 dst_sel:DWORD dst_unused:UNUSED_PAD src0_sel:DWORD src1_sel:WORD_1
	v_cndmask_b32_e32 v56, v59, v56, vcc_lo
	v_and_b32_e32 v58, 7, v58
	v_lshl_add_u32 v56, v56, 23, 0x3b800000
	v_cndmask_b32_e32 v96, v96, v58, vcc_lo
	v_and_b32_e32 v58, 0x80000000, v60
	v_lshlrev_b32_e32 v96, 20, v96
	v_or3_b32 v58, v58, v56, v96
.LBB0_777:                              ;   in Loop: Header=BB0_625 Depth=2
	s_or_b32 exec_lo, exec_lo, s22
	v_add_f32_e32 v56, v57, v58
	v_and_b32_e32 v96, 0x7f800000, v56
	v_cmp_ne_u32_e32 vcc_lo, 0x7f800000, v96
	v_mov_b32_e32 v96, 0x80
	s_and_saveexec_b32 s22, vcc_lo
	s_cbranch_execz .LBB0_785
; %bb.778:                              ;   in Loop: Header=BB0_625 Depth=2
	v_mov_b32_e32 v96, 0
	s_mov_b32 s23, exec_lo
	v_cmpx_ne_u32_e32 0, v56
	s_cbranch_execz .LBB0_784
; %bb.779:                              ;   in Loop: Header=BB0_625 Depth=2
	v_bfe_u32 v96, v56, 23, 8
	v_and_b32_e32 v57, 0x7fffff, v56
	v_sub_nc_u32_e32 v58, 0x78, v96
	v_cmp_gt_u32_e32 vcc_lo, 0x79, v96
	v_or_b32_e32 v59, 0x800000, v57
	v_cndmask_b32_e32 v58, 0, v58, vcc_lo
	v_cmp_eq_u32_e32 vcc_lo, 0, v96
	v_add_nc_u32_e32 v96, 0xffffff89, v96
	v_cndmask_b32_e64 v58, v58, 0x77, vcc_lo
	v_cndmask_b32_e32 v57, v59, v57, vcc_lo
	v_cndmask_b32_e64 v96, v96, 0xffffff8a, vcc_lo
	v_lshl_add_u32 v59, 0x100000, v58, -1
	v_lshrrev_b32_e32 v60, v58, v57
	v_lshlrev_b32_e64 v62, v58, 0x80000
	v_add_nc_u32_e32 v58, v58, v96
	v_and_b32_e32 v57, v59, v57
	v_bfe_u32 v61, v60, 20, 1
	v_cmp_eq_u32_e64 s10, v57, v62
	v_add_nc_u32_e32 v59, -1, v61
	v_cndmask_b32_e64 v57, 0, v59, s10
	v_lshrrev_b32_e32 v59, 23, v60
	s_mov_b32 s10, exec_lo
	v_add_nc_u32_e32 v57, v57, v60
	v_xor_b32_e32 v59, 1, v59
	v_and_b32_e32 v96, 0xfffff, v57
	v_add_nc_u32_e32 v57, v96, v60
                                        ; implicit-def: $vgpr96
	v_cmpx_ne_u32_e64 v58, v59
	s_xor_b32 s10, exec_lo, s10
; %bb.780:                              ;   in Loop: Header=BB0_625 Depth=2
	v_cmp_lt_u32_e32 vcc_lo, 0xffffff, v57
	v_sub_nc_u32_e32 v96, v58, v59
	v_cndmask_b32_e64 v58, 0, 1, vcc_lo
	v_add_co_ci_u32_e64 v96, null, 0, v96, vcc_lo
	v_lshrrev_b32_e32 v57, v58, v57
; %bb.781:                              ;   in Loop: Header=BB0_625 Depth=2
	s_andn2_saveexec_b32 s10, s10
; %bb.782:                              ;   in Loop: Header=BB0_625 Depth=2
	v_bfe_u32 v96, v57, 23, 1
; %bb.783:                              ;   in Loop: Header=BB0_625 Depth=2
	s_or_b32 exec_lo, exec_lo, s10
	v_lshrrev_b32_e32 v57, 20, v57
	v_min_i32_e32 v58, 15, v96
	v_cmp_gt_i32_e32 vcc_lo, 16, v96
	v_and_b32_sdwa v56, v56, v41 dst_sel:DWORD dst_unused:UNUSED_PAD src0_sel:BYTE_3 src1_sel:DWORD
	v_lshlrev_b32_e32 v58, 3, v58
	v_cndmask_b32_e32 v57, 7, v57, vcc_lo
	v_and_b32_e32 v58, 0xf8, v58
	v_and_b32_e32 v59, 7, v57
	v_or_b32_e32 v96, v96, v57
	v_or3_b32 v56, v58, v56, v59
	v_cmp_ne_u32_e32 vcc_lo, 0, v96
	v_cndmask_b32_e32 v96, 0, v56, vcc_lo
.LBB0_784:                              ;   in Loop: Header=BB0_625 Depth=2
	s_or_b32 exec_lo, exec_lo, s23
.LBB0_785:                              ;   in Loop: Header=BB0_625 Depth=2
	s_or_b32 exec_lo, exec_lo, s22
	v_cmp_gt_i16_sdwa s22, v17, v40 src0_sel:BYTE_3 src1_sel:DWORD
	s_mov_b32 s10, 0
	s_and_saveexec_b32 s23, s22
	s_xor_b32 s22, exec_lo, s23
	s_cbranch_execnz .LBB0_939
; %bb.786:                              ;   in Loop: Header=BB0_625 Depth=2
	s_or_saveexec_b32 s22, s22
	v_mov_b32_e32 v56, 0x7f800001
	s_xor_b32 exec_lo, exec_lo, s22
	s_cbranch_execnz .LBB0_942
.LBB0_787:                              ;   in Loop: Header=BB0_625 Depth=2
	s_or_b32 exec_lo, exec_lo, s22
	s_and_saveexec_b32 s22, s10
	s_cbranch_execz .LBB0_789
.LBB0_788:                              ;   in Loop: Header=BB0_625 Depth=2
	v_bfe_u32 v56, v17, 24, 3
	v_bfe_u32 v59, v17, 27, 4
	v_ffbh_u32_e32 v57, v56
	v_cmp_eq_u32_e32 vcc_lo, 0, v59
	v_min_u32_e32 v57, 32, v57
	v_subrev_nc_u32_e32 v58, 28, v57
	v_sub_nc_u32_e32 v57, 29, v57
	v_lshlrev_b32_sdwa v58, v58, v17 dst_sel:DWORD dst_unused:UNUSED_PAD src0_sel:DWORD src1_sel:BYTE_3
	v_cndmask_b32_e32 v57, v59, v57, vcc_lo
	v_and_b32_e32 v17, 0x80000000, v17
	v_and_b32_e32 v58, 7, v58
	v_lshl_add_u32 v57, v57, 23, 0x3b800000
	v_cndmask_b32_e32 v56, v56, v58, vcc_lo
	v_lshlrev_b32_e32 v56, 20, v56
	v_or3_b32 v56, v17, v57, v56
.LBB0_789:                              ;   in Loop: Header=BB0_625 Depth=2
	s_or_b32 exec_lo, exec_lo, s22
	v_cmp_gt_i16_sdwa s22, v47, v40 src0_sel:BYTE_3 src1_sel:DWORD
	s_mov_b32 s10, 0
	s_and_saveexec_b32 s23, s22
	s_xor_b32 s22, exec_lo, s23
	s_cbranch_execnz .LBB0_943
; %bb.790:                              ;   in Loop: Header=BB0_625 Depth=2
	s_or_saveexec_b32 s22, s22
	v_mov_b32_e32 v17, 0x7f800001
	s_xor_b32 exec_lo, exec_lo, s22
	s_cbranch_execnz .LBB0_946
.LBB0_791:                              ;   in Loop: Header=BB0_625 Depth=2
	s_or_b32 exec_lo, exec_lo, s22
	s_and_saveexec_b32 s22, s10
	s_cbranch_execz .LBB0_793
.LBB0_792:                              ;   in Loop: Header=BB0_625 Depth=2
	v_bfe_u32 v17, v47, 24, 3
	v_bfe_u32 v59, v47, 27, 4
	v_ffbh_u32_e32 v57, v17
	v_cmp_eq_u32_e32 vcc_lo, 0, v59
	v_min_u32_e32 v57, 32, v57
	v_subrev_nc_u32_e32 v58, 28, v57
	v_sub_nc_u32_e32 v57, 29, v57
	v_lshlrev_b32_sdwa v58, v58, v47 dst_sel:DWORD dst_unused:UNUSED_PAD src0_sel:DWORD src1_sel:BYTE_3
	v_cndmask_b32_e32 v57, v59, v57, vcc_lo
	v_and_b32_e32 v47, 0x80000000, v47
	v_and_b32_e32 v58, 7, v58
	v_lshl_add_u32 v57, v57, 23, 0x3b800000
	v_cndmask_b32_e32 v17, v17, v58, vcc_lo
	v_lshlrev_b32_e32 v17, 20, v17
	v_or3_b32 v17, v47, v57, v17
.LBB0_793:                              ;   in Loop: Header=BB0_625 Depth=2
	s_or_b32 exec_lo, exec_lo, s22
	v_add_f32_e32 v47, v56, v17
	v_and_b32_e32 v17, 0x7f800000, v47
	v_cmp_ne_u32_e32 vcc_lo, 0x7f800000, v17
	v_mov_b32_e32 v17, 0x8000
	s_and_saveexec_b32 s22, vcc_lo
	s_cbranch_execz .LBB0_801
; %bb.794:                              ;   in Loop: Header=BB0_625 Depth=2
	v_mov_b32_e32 v17, 0
	s_mov_b32 s23, exec_lo
	v_cmpx_ne_u32_e32 0, v47
	s_cbranch_execz .LBB0_800
; %bb.795:                              ;   in Loop: Header=BB0_625 Depth=2
	v_bfe_u32 v17, v47, 23, 8
	v_and_b32_e32 v56, 0x7fffff, v47
	v_sub_nc_u32_e32 v57, 0x78, v17
	v_cmp_gt_u32_e32 vcc_lo, 0x79, v17
	v_or_b32_e32 v58, 0x800000, v56
	v_cndmask_b32_e32 v57, 0, v57, vcc_lo
	v_cmp_eq_u32_e32 vcc_lo, 0, v17
	v_add_nc_u32_e32 v17, 0xffffff89, v17
	v_cndmask_b32_e64 v57, v57, 0x77, vcc_lo
	v_cndmask_b32_e32 v56, v58, v56, vcc_lo
	v_cndmask_b32_e64 v17, v17, 0xffffff8a, vcc_lo
	v_lshl_add_u32 v58, 0x100000, v57, -1
	v_lshrrev_b32_e32 v59, v57, v56
	v_lshlrev_b32_e64 v61, v57, 0x80000
	v_add_nc_u32_e32 v57, v57, v17
	v_and_b32_e32 v56, v58, v56
	v_bfe_u32 v60, v59, 20, 1
	v_cmp_eq_u32_e64 s10, v56, v61
	v_add_nc_u32_e32 v58, -1, v60
	v_cndmask_b32_e64 v56, 0, v58, s10
	v_lshrrev_b32_e32 v58, 23, v59
	s_mov_b32 s10, exec_lo
	v_add_nc_u32_e32 v56, v56, v59
	v_xor_b32_e32 v58, 1, v58
	v_and_b32_e32 v17, 0xfffff, v56
	v_add_nc_u32_e32 v56, v17, v59
                                        ; implicit-def: $vgpr17
	v_cmpx_ne_u32_e64 v57, v58
	s_xor_b32 s10, exec_lo, s10
; %bb.796:                              ;   in Loop: Header=BB0_625 Depth=2
	v_cmp_lt_u32_e32 vcc_lo, 0xffffff, v56
	v_sub_nc_u32_e32 v17, v57, v58
	v_cndmask_b32_e64 v57, 0, 1, vcc_lo
	v_add_co_ci_u32_e64 v17, null, 0, v17, vcc_lo
	v_lshrrev_b32_e32 v56, v57, v56
; %bb.797:                              ;   in Loop: Header=BB0_625 Depth=2
	s_andn2_saveexec_b32 s10, s10
; %bb.798:                              ;   in Loop: Header=BB0_625 Depth=2
	v_bfe_u32 v17, v56, 23, 1
; %bb.799:                              ;   in Loop: Header=BB0_625 Depth=2
	s_or_b32 exec_lo, exec_lo, s10
	v_lshrrev_b32_e32 v56, 20, v56
	v_min_i32_e32 v57, 15, v17
	v_cmp_gt_i32_e32 vcc_lo, 16, v17
	v_and_b32_sdwa v47, v47, v41 dst_sel:DWORD dst_unused:UNUSED_PAD src0_sel:BYTE_3 src1_sel:DWORD
	v_lshlrev_b32_e32 v57, 3, v57
	v_cndmask_b32_e32 v56, 7, v56, vcc_lo
	v_and_b32_e32 v57, 0xf8, v57
	v_and_b32_e32 v58, 7, v56
	v_or_b32_e32 v17, v17, v56
	v_or3_b32 v47, v47, v57, v58
	v_cmp_ne_u32_e32 vcc_lo, 0, v17
	v_lshlrev_b32_e32 v47, 8, v47
	v_cndmask_b32_e32 v17, 0, v47, vcc_lo
.LBB0_800:                              ;   in Loop: Header=BB0_625 Depth=2
	s_or_b32 exec_lo, exec_lo, s23
.LBB0_801:                              ;   in Loop: Header=BB0_625 Depth=2
	s_or_b32 exec_lo, exec_lo, s22
	v_cmp_gt_i16_sdwa s22, v19, v40 src0_sel:BYTE_0 src1_sel:DWORD
	s_mov_b32 s10, 0
	s_and_saveexec_b32 s23, s22
	s_xor_b32 s22, exec_lo, s23
	s_cbranch_execnz .LBB0_947
; %bb.802:                              ;   in Loop: Header=BB0_625 Depth=2
	s_or_saveexec_b32 s22, s22
	v_mov_b32_e32 v47, 0x7f800001
	s_xor_b32 exec_lo, exec_lo, s22
	s_cbranch_execnz .LBB0_950
.LBB0_803:                              ;   in Loop: Header=BB0_625 Depth=2
	s_or_b32 exec_lo, exec_lo, s22
	s_and_saveexec_b32 s22, s10
	s_cbranch_execz .LBB0_805
.LBB0_804:                              ;   in Loop: Header=BB0_625 Depth=2
	v_and_b32_e32 v47, 7, v19
	v_bfe_u32 v58, v19, 3, 4
	v_lshlrev_b32_e32 v59, 24, v19
	v_ffbh_u32_e32 v56, v47
	v_cmp_eq_u32_e32 vcc_lo, 0, v58
	v_min_u32_e32 v56, 32, v56
	v_subrev_nc_u32_e32 v57, 28, v56
	v_sub_nc_u32_e32 v56, 29, v56
	v_lshlrev_b32_e32 v57, v57, v19
	v_cndmask_b32_e32 v56, v58, v56, vcc_lo
	v_and_b32_e32 v57, 7, v57
	v_lshl_add_u32 v56, v56, 23, 0x3b800000
	v_cndmask_b32_e32 v47, v47, v57, vcc_lo
	v_and_b32_e32 v57, 0x80000000, v59
	v_lshlrev_b32_e32 v47, 20, v47
	v_or3_b32 v47, v57, v56, v47
.LBB0_805:                              ;   in Loop: Header=BB0_625 Depth=2
	s_or_b32 exec_lo, exec_lo, s22
	v_or_b32_e32 v97, v97, v54
	s_mov_b32 s10, 0
	v_cmp_gt_i16_sdwa s22, v97, v40 src0_sel:BYTE_0 src1_sel:DWORD
	s_and_saveexec_b32 s23, s22
	s_xor_b32 s22, exec_lo, s23
	s_cbranch_execnz .LBB0_951
; %bb.806:                              ;   in Loop: Header=BB0_625 Depth=2
	s_or_saveexec_b32 s22, s22
	v_mov_b32_e32 v54, 0x7f800001
	s_xor_b32 exec_lo, exec_lo, s22
	s_cbranch_execnz .LBB0_954
.LBB0_807:                              ;   in Loop: Header=BB0_625 Depth=2
	s_or_b32 exec_lo, exec_lo, s22
	s_and_saveexec_b32 s22, s10
	s_cbranch_execz .LBB0_809
.LBB0_808:                              ;   in Loop: Header=BB0_625 Depth=2
	v_and_b32_e32 v54, 7, v97
	v_bfe_u32 v58, v97, 3, 4
	v_lshlrev_b32_e32 v59, 24, v97
	v_ffbh_u32_e32 v56, v54
	v_cmp_eq_u32_e32 vcc_lo, 0, v58
	v_min_u32_e32 v56, 32, v56
	v_subrev_nc_u32_e32 v57, 28, v56
	v_sub_nc_u32_e32 v56, 29, v56
	v_lshlrev_b32_e32 v57, v57, v97
	v_cndmask_b32_e32 v56, v58, v56, vcc_lo
	v_and_b32_e32 v57, 7, v57
	v_lshl_add_u32 v56, v56, 23, 0x3b800000
	v_cndmask_b32_e32 v54, v54, v57, vcc_lo
	v_and_b32_e32 v57, 0x80000000, v59
	v_lshlrev_b32_e32 v54, 20, v54
	v_or3_b32 v54, v57, v56, v54
.LBB0_809:                              ;   in Loop: Header=BB0_625 Depth=2
	s_or_b32 exec_lo, exec_lo, s22
	v_add_f32_e32 v47, v47, v54
	v_and_b32_e32 v54, 0x7f800000, v47
	v_cmp_ne_u32_e32 vcc_lo, 0x7f800000, v54
	v_mov_b32_e32 v54, 0x80
	s_and_saveexec_b32 s22, vcc_lo
	s_cbranch_execz .LBB0_817
; %bb.810:                              ;   in Loop: Header=BB0_625 Depth=2
	v_mov_b32_e32 v54, 0
	s_mov_b32 s23, exec_lo
	v_cmpx_ne_u32_e32 0, v47
	s_cbranch_execz .LBB0_816
; %bb.811:                              ;   in Loop: Header=BB0_625 Depth=2
	v_bfe_u32 v54, v47, 23, 8
	v_and_b32_e32 v56, 0x7fffff, v47
	v_sub_nc_u32_e32 v57, 0x78, v54
	v_cmp_gt_u32_e32 vcc_lo, 0x79, v54
	v_or_b32_e32 v58, 0x800000, v56
	v_cndmask_b32_e32 v57, 0, v57, vcc_lo
	v_cmp_eq_u32_e32 vcc_lo, 0, v54
	v_add_nc_u32_e32 v54, 0xffffff89, v54
	v_cndmask_b32_e64 v57, v57, 0x77, vcc_lo
	v_cndmask_b32_e32 v56, v58, v56, vcc_lo
	v_cndmask_b32_e64 v54, v54, 0xffffff8a, vcc_lo
	v_lshl_add_u32 v58, 0x100000, v57, -1
	v_lshrrev_b32_e32 v59, v57, v56
	v_lshlrev_b32_e64 v61, v57, 0x80000
	v_add_nc_u32_e32 v57, v57, v54
	v_and_b32_e32 v56, v58, v56
	v_bfe_u32 v60, v59, 20, 1
	v_cmp_eq_u32_e64 s10, v56, v61
	v_add_nc_u32_e32 v58, -1, v60
	v_cndmask_b32_e64 v56, 0, v58, s10
	v_lshrrev_b32_e32 v58, 23, v59
	s_mov_b32 s10, exec_lo
	v_add_nc_u32_e32 v56, v56, v59
	v_xor_b32_e32 v58, 1, v58
	v_and_b32_e32 v54, 0xfffff, v56
	v_add_nc_u32_e32 v56, v54, v59
                                        ; implicit-def: $vgpr54
	v_cmpx_ne_u32_e64 v57, v58
	s_xor_b32 s10, exec_lo, s10
; %bb.812:                              ;   in Loop: Header=BB0_625 Depth=2
	v_cmp_lt_u32_e32 vcc_lo, 0xffffff, v56
	v_sub_nc_u32_e32 v54, v57, v58
	v_cndmask_b32_e64 v57, 0, 1, vcc_lo
	v_add_co_ci_u32_e64 v54, null, 0, v54, vcc_lo
	v_lshrrev_b32_e32 v56, v57, v56
; %bb.813:                              ;   in Loop: Header=BB0_625 Depth=2
	s_andn2_saveexec_b32 s10, s10
; %bb.814:                              ;   in Loop: Header=BB0_625 Depth=2
	v_bfe_u32 v54, v56, 23, 1
; %bb.815:                              ;   in Loop: Header=BB0_625 Depth=2
	s_or_b32 exec_lo, exec_lo, s10
	v_lshrrev_b32_e32 v56, 20, v56
	v_min_i32_e32 v57, 15, v54
	v_cmp_gt_i32_e32 vcc_lo, 16, v54
	v_and_b32_sdwa v47, v47, v41 dst_sel:DWORD dst_unused:UNUSED_PAD src0_sel:BYTE_3 src1_sel:DWORD
	v_lshlrev_b32_e32 v57, 3, v57
	v_cndmask_b32_e32 v56, 7, v56, vcc_lo
	v_and_b32_e32 v57, 0xf8, v57
	v_and_b32_e32 v58, 7, v56
	v_or_b32_e32 v54, v54, v56
	v_or3_b32 v47, v57, v47, v58
	v_cmp_ne_u32_e32 vcc_lo, 0, v54
	v_cndmask_b32_e32 v54, 0, v47, vcc_lo
.LBB0_816:                              ;   in Loop: Header=BB0_625 Depth=2
	s_or_b32 exec_lo, exec_lo, s23
.LBB0_817:                              ;   in Loop: Header=BB0_625 Depth=2
	s_or_b32 exec_lo, exec_lo, s22
	v_cmp_gt_i16_sdwa s22, v19, v40 src0_sel:BYTE_1 src1_sel:DWORD
	s_mov_b32 s10, 0
	s_and_saveexec_b32 s23, s22
	s_xor_b32 s22, exec_lo, s23
	s_cbranch_execnz .LBB0_955
; %bb.818:                              ;   in Loop: Header=BB0_625 Depth=2
	s_or_saveexec_b32 s22, s22
	v_mov_b32_e32 v47, 0x7f800001
	s_xor_b32 exec_lo, exec_lo, s22
	s_cbranch_execnz .LBB0_958
.LBB0_819:                              ;   in Loop: Header=BB0_625 Depth=2
	s_or_b32 exec_lo, exec_lo, s22
	s_and_saveexec_b32 s22, s10
	s_cbranch_execz .LBB0_821
.LBB0_820:                              ;   in Loop: Header=BB0_625 Depth=2
	v_and_b32_sdwa v47, v42, v19 dst_sel:DWORD dst_unused:UNUSED_PAD src0_sel:DWORD src1_sel:BYTE_1
	v_and_b32_e32 v56, 7, v47
	v_bfe_u32 v59, v47, 3, 4
	v_ffbh_u32_e32 v57, v56
	v_cmp_eq_u32_e32 vcc_lo, 0, v59
	v_min_u32_e32 v57, 32, v57
	v_subrev_nc_u32_e32 v58, 28, v57
	v_sub_nc_u32_e32 v57, 29, v57
	v_lshlrev_b32_e32 v47, v58, v47
	v_lshlrev_b32_sdwa v58, v43, v19 dst_sel:DWORD dst_unused:UNUSED_PAD src0_sel:DWORD src1_sel:BYTE_1
	v_cndmask_b32_e32 v57, v59, v57, vcc_lo
	v_and_b32_e32 v47, 7, v47
	v_lshl_add_u32 v57, v57, 23, 0x3b800000
	v_cndmask_b32_e32 v47, v56, v47, vcc_lo
	v_and_b32_e32 v56, 0x80000000, v58
	v_lshlrev_b32_e32 v47, 20, v47
	v_or3_b32 v47, v56, v57, v47
.LBB0_821:                              ;   in Loop: Header=BB0_625 Depth=2
	s_or_b32 exec_lo, exec_lo, s22
	v_cmp_gt_i16_sdwa s22, v97, v40 src0_sel:BYTE_1 src1_sel:DWORD
	s_mov_b32 s10, 0
	s_and_saveexec_b32 s23, s22
	s_xor_b32 s22, exec_lo, s23
	s_cbranch_execnz .LBB0_959
; %bb.822:                              ;   in Loop: Header=BB0_625 Depth=2
	s_or_saveexec_b32 s22, s22
	v_mov_b32_e32 v56, 0x7f800001
	s_xor_b32 exec_lo, exec_lo, s22
	s_cbranch_execnz .LBB0_962
.LBB0_823:                              ;   in Loop: Header=BB0_625 Depth=2
	s_or_b32 exec_lo, exec_lo, s22
	s_and_saveexec_b32 s22, s10
	s_cbranch_execz .LBB0_825
.LBB0_824:                              ;   in Loop: Header=BB0_625 Depth=2
	v_and_b32_sdwa v56, v42, v97 dst_sel:DWORD dst_unused:UNUSED_PAD src0_sel:DWORD src1_sel:BYTE_1
	v_and_b32_e32 v57, 7, v56
	v_bfe_u32 v60, v56, 3, 4
	v_ffbh_u32_e32 v58, v57
	v_cmp_eq_u32_e32 vcc_lo, 0, v60
	v_min_u32_e32 v58, 32, v58
	v_subrev_nc_u32_e32 v59, 28, v58
	v_sub_nc_u32_e32 v58, 29, v58
	v_lshlrev_b32_e32 v56, v59, v56
	v_lshlrev_b32_sdwa v59, v43, v97 dst_sel:DWORD dst_unused:UNUSED_PAD src0_sel:DWORD src1_sel:BYTE_1
	v_cndmask_b32_e32 v58, v60, v58, vcc_lo
	v_and_b32_e32 v56, 7, v56
	v_lshl_add_u32 v58, v58, 23, 0x3b800000
	v_cndmask_b32_e32 v56, v57, v56, vcc_lo
	v_and_b32_e32 v57, 0x80000000, v59
	v_lshlrev_b32_e32 v56, 20, v56
	v_or3_b32 v56, v57, v58, v56
.LBB0_825:                              ;   in Loop: Header=BB0_625 Depth=2
	s_or_b32 exec_lo, exec_lo, s22
	v_add_f32_e32 v56, v47, v56
	v_and_b32_e32 v47, 0x7f800000, v56
	v_cmp_ne_u32_e32 vcc_lo, 0x7f800000, v47
	v_mov_b32_e32 v47, 0x8000
	s_and_saveexec_b32 s22, vcc_lo
	s_cbranch_execz .LBB0_833
; %bb.826:                              ;   in Loop: Header=BB0_625 Depth=2
	v_mov_b32_e32 v47, 0
	s_mov_b32 s23, exec_lo
	v_cmpx_ne_u32_e32 0, v56
	s_cbranch_execz .LBB0_832
; %bb.827:                              ;   in Loop: Header=BB0_625 Depth=2
	v_bfe_u32 v47, v56, 23, 8
	v_and_b32_e32 v57, 0x7fffff, v56
	v_sub_nc_u32_e32 v58, 0x78, v47
	v_cmp_gt_u32_e32 vcc_lo, 0x79, v47
	v_or_b32_e32 v59, 0x800000, v57
	v_cndmask_b32_e32 v58, 0, v58, vcc_lo
	v_cmp_eq_u32_e32 vcc_lo, 0, v47
	v_add_nc_u32_e32 v47, 0xffffff89, v47
	v_cndmask_b32_e64 v58, v58, 0x77, vcc_lo
	v_cndmask_b32_e32 v57, v59, v57, vcc_lo
	v_cndmask_b32_e64 v47, v47, 0xffffff8a, vcc_lo
	v_lshl_add_u32 v59, 0x100000, v58, -1
	v_lshrrev_b32_e32 v60, v58, v57
	v_lshlrev_b32_e64 v62, v58, 0x80000
	v_add_nc_u32_e32 v58, v58, v47
	v_and_b32_e32 v57, v59, v57
	v_bfe_u32 v61, v60, 20, 1
	v_cmp_eq_u32_e64 s10, v57, v62
	v_add_nc_u32_e32 v59, -1, v61
	v_cndmask_b32_e64 v57, 0, v59, s10
	v_lshrrev_b32_e32 v59, 23, v60
	s_mov_b32 s10, exec_lo
	v_add_nc_u32_e32 v57, v57, v60
	v_xor_b32_e32 v59, 1, v59
	v_and_b32_e32 v47, 0xfffff, v57
	v_add_nc_u32_e32 v57, v47, v60
                                        ; implicit-def: $vgpr47
	v_cmpx_ne_u32_e64 v58, v59
	s_xor_b32 s10, exec_lo, s10
; %bb.828:                              ;   in Loop: Header=BB0_625 Depth=2
	v_cmp_lt_u32_e32 vcc_lo, 0xffffff, v57
	v_sub_nc_u32_e32 v47, v58, v59
	v_cndmask_b32_e64 v58, 0, 1, vcc_lo
	v_add_co_ci_u32_e64 v47, null, 0, v47, vcc_lo
	v_lshrrev_b32_e32 v57, v58, v57
; %bb.829:                              ;   in Loop: Header=BB0_625 Depth=2
	s_andn2_saveexec_b32 s10, s10
; %bb.830:                              ;   in Loop: Header=BB0_625 Depth=2
	v_bfe_u32 v47, v57, 23, 1
; %bb.831:                              ;   in Loop: Header=BB0_625 Depth=2
	s_or_b32 exec_lo, exec_lo, s10
	v_lshrrev_b32_e32 v57, 20, v57
	v_min_i32_e32 v58, 15, v47
	v_cmp_gt_i32_e32 vcc_lo, 16, v47
	v_and_b32_sdwa v56, v56, v41 dst_sel:DWORD dst_unused:UNUSED_PAD src0_sel:BYTE_3 src1_sel:DWORD
	v_lshlrev_b32_e32 v58, 3, v58
	v_cndmask_b32_e32 v57, 7, v57, vcc_lo
	v_and_b32_e32 v58, 0xf8, v58
	v_and_b32_e32 v59, 7, v57
	v_or_b32_e32 v47, v47, v57
	v_or3_b32 v56, v56, v58, v59
	v_cmp_ne_u32_e32 vcc_lo, 0, v47
	v_lshlrev_b32_e32 v56, 8, v56
	v_cndmask_b32_e32 v47, 0, v56, vcc_lo
.LBB0_832:                              ;   in Loop: Header=BB0_625 Depth=2
	s_or_b32 exec_lo, exec_lo, s23
.LBB0_833:                              ;   in Loop: Header=BB0_625 Depth=2
	s_or_b32 exec_lo, exec_lo, s22
	v_and_b32_sdwa v57, v19, v44 dst_sel:DWORD dst_unused:UNUSED_PAD src0_sel:WORD_1 src1_sel:DWORD
	s_mov_b32 s10, 0
	s_mov_b32 s22, exec_lo
	v_cmpx_lt_i16_e32 0x7f, v57
	s_xor_b32 s22, exec_lo, s22
	s_cbranch_execnz .LBB0_963
; %bb.834:                              ;   in Loop: Header=BB0_625 Depth=2
	s_or_saveexec_b32 s22, s22
	v_mov_b32_e32 v56, 0x7f800001
	s_xor_b32 exec_lo, exec_lo, s22
	s_cbranch_execnz .LBB0_966
.LBB0_835:                              ;   in Loop: Header=BB0_625 Depth=2
	s_or_b32 exec_lo, exec_lo, s22
	s_and_saveexec_b32 s22, s10
	s_cbranch_execz .LBB0_837
.LBB0_836:                              ;   in Loop: Header=BB0_625 Depth=2
	v_bfe_u32 v56, v19, 16, 3
	v_bfe_u32 v59, v19, 19, 4
	v_lshlrev_b32_e32 v60, 8, v19
	v_ffbh_u32_e32 v57, v56
	v_cmp_eq_u32_e32 vcc_lo, 0, v59
	v_min_u32_e32 v57, 32, v57
	v_subrev_nc_u32_e32 v58, 28, v57
	v_sub_nc_u32_e32 v57, 29, v57
	v_lshlrev_b32_sdwa v58, v58, v19 dst_sel:DWORD dst_unused:UNUSED_PAD src0_sel:DWORD src1_sel:WORD_1
	v_cndmask_b32_e32 v57, v59, v57, vcc_lo
	v_and_b32_e32 v58, 7, v58
	v_lshl_add_u32 v57, v57, 23, 0x3b800000
	v_cndmask_b32_e32 v56, v56, v58, vcc_lo
	v_and_b32_e32 v58, 0x80000000, v60
	v_lshlrev_b32_e32 v56, 20, v56
	v_or3_b32 v56, v58, v57, v56
.LBB0_837:                              ;   in Loop: Header=BB0_625 Depth=2
	s_or_b32 exec_lo, exec_lo, s22
	v_or_b32_e32 v18, v81, v18
	s_mov_b32 s10, 0
	v_cmp_gt_i16_sdwa s22, v18, v40 src0_sel:BYTE_0 src1_sel:DWORD
	s_and_saveexec_b32 s23, s22
	s_xor_b32 s22, exec_lo, s23
	s_cbranch_execnz .LBB0_967
; %bb.838:                              ;   in Loop: Header=BB0_625 Depth=2
	s_or_saveexec_b32 s22, s22
	v_mov_b32_e32 v57, 0x7f800001
	s_xor_b32 exec_lo, exec_lo, s22
	s_cbranch_execnz .LBB0_970
.LBB0_839:                              ;   in Loop: Header=BB0_625 Depth=2
	s_or_b32 exec_lo, exec_lo, s22
	v_lshl_or_b32 v81, v18, 16, v97
	s_and_saveexec_b32 s22, s10
	s_cbranch_execz .LBB0_841
.LBB0_840:                              ;   in Loop: Header=BB0_625 Depth=2
	v_bfe_u32 v18, v81, 16, 3
	v_bfe_u32 v58, v81, 19, 4
	v_lshlrev_b32_e32 v59, 8, v81
	v_ffbh_u32_e32 v97, v18
	v_cmp_eq_u32_e32 vcc_lo, 0, v58
	v_min_u32_e32 v97, 32, v97
	v_subrev_nc_u32_e32 v57, 28, v97
	v_sub_nc_u32_e32 v97, 29, v97
	v_lshlrev_b32_sdwa v57, v57, v81 dst_sel:DWORD dst_unused:UNUSED_PAD src0_sel:DWORD src1_sel:WORD_1
	v_cndmask_b32_e32 v97, v58, v97, vcc_lo
	v_and_b32_e32 v57, 7, v57
	v_lshl_add_u32 v97, v97, 23, 0x3b800000
	v_cndmask_b32_e32 v18, v18, v57, vcc_lo
	v_and_b32_e32 v57, 0x80000000, v59
	v_lshlrev_b32_e32 v18, 20, v18
	v_or3_b32 v57, v57, v97, v18
.LBB0_841:                              ;   in Loop: Header=BB0_625 Depth=2
	s_or_b32 exec_lo, exec_lo, s22
	v_add_f32_e32 v97, v56, v57
	v_and_b32_e32 v18, 0x7f800000, v97
	v_cmp_ne_u32_e32 vcc_lo, 0x7f800000, v18
	v_mov_b32_e32 v18, 0x80
	s_and_saveexec_b32 s22, vcc_lo
	s_cbranch_execz .LBB0_849
; %bb.842:                              ;   in Loop: Header=BB0_625 Depth=2
	v_mov_b32_e32 v18, 0
	s_mov_b32 s23, exec_lo
	v_cmpx_ne_u32_e32 0, v97
	s_cbranch_execz .LBB0_848
; %bb.843:                              ;   in Loop: Header=BB0_625 Depth=2
	v_bfe_u32 v18, v97, 23, 8
	v_and_b32_e32 v56, 0x7fffff, v97
	v_sub_nc_u32_e32 v57, 0x78, v18
	v_cmp_gt_u32_e32 vcc_lo, 0x79, v18
	v_or_b32_e32 v58, 0x800000, v56
	v_cndmask_b32_e32 v57, 0, v57, vcc_lo
	v_cmp_eq_u32_e32 vcc_lo, 0, v18
	v_add_nc_u32_e32 v18, 0xffffff89, v18
	v_cndmask_b32_e64 v57, v57, 0x77, vcc_lo
	v_cndmask_b32_e32 v56, v58, v56, vcc_lo
	v_cndmask_b32_e64 v18, v18, 0xffffff8a, vcc_lo
	v_lshl_add_u32 v58, 0x100000, v57, -1
	v_lshrrev_b32_e32 v59, v57, v56
	v_lshlrev_b32_e64 v61, v57, 0x80000
	v_add_nc_u32_e32 v57, v57, v18
	v_and_b32_e32 v56, v58, v56
	v_bfe_u32 v60, v59, 20, 1
	v_cmp_eq_u32_e64 s10, v56, v61
	v_add_nc_u32_e32 v58, -1, v60
	v_cndmask_b32_e64 v56, 0, v58, s10
	v_lshrrev_b32_e32 v58, 23, v59
	s_mov_b32 s10, exec_lo
	v_add_nc_u32_e32 v56, v56, v59
	v_xor_b32_e32 v58, 1, v58
	v_and_b32_e32 v18, 0xfffff, v56
	v_add_nc_u32_e32 v56, v18, v59
                                        ; implicit-def: $vgpr18
	v_cmpx_ne_u32_e64 v57, v58
	s_xor_b32 s10, exec_lo, s10
; %bb.844:                              ;   in Loop: Header=BB0_625 Depth=2
	v_cmp_lt_u32_e32 vcc_lo, 0xffffff, v56
	v_sub_nc_u32_e32 v18, v57, v58
	v_cndmask_b32_e64 v57, 0, 1, vcc_lo
	v_add_co_ci_u32_e64 v18, null, 0, v18, vcc_lo
	v_lshrrev_b32_e32 v56, v57, v56
; %bb.845:                              ;   in Loop: Header=BB0_625 Depth=2
	s_andn2_saveexec_b32 s10, s10
; %bb.846:                              ;   in Loop: Header=BB0_625 Depth=2
	v_bfe_u32 v18, v56, 23, 1
; %bb.847:                              ;   in Loop: Header=BB0_625 Depth=2
	s_or_b32 exec_lo, exec_lo, s10
	v_lshrrev_b32_e32 v56, 20, v56
	v_min_i32_e32 v57, 15, v18
	v_cmp_gt_i32_e32 vcc_lo, 16, v18
	v_and_b32_sdwa v97, v97, v41 dst_sel:DWORD dst_unused:UNUSED_PAD src0_sel:BYTE_3 src1_sel:DWORD
	v_lshlrev_b32_e32 v57, 3, v57
	v_cndmask_b32_e32 v56, 7, v56, vcc_lo
	v_and_b32_e32 v57, 0xf8, v57
	v_and_b32_e32 v58, 7, v56
	v_or_b32_e32 v18, v18, v56
	v_or3_b32 v97, v57, v97, v58
	v_cmp_ne_u32_e32 vcc_lo, 0, v18
	v_cndmask_b32_e32 v18, 0, v97, vcc_lo
.LBB0_848:                              ;   in Loop: Header=BB0_625 Depth=2
	s_or_b32 exec_lo, exec_lo, s23
.LBB0_849:                              ;   in Loop: Header=BB0_625 Depth=2
	s_or_b32 exec_lo, exec_lo, s22
	v_cmp_gt_i16_sdwa s22, v19, v40 src0_sel:BYTE_3 src1_sel:DWORD
	s_mov_b32 s10, 0
	s_and_saveexec_b32 s23, s22
	s_xor_b32 s22, exec_lo, s23
	s_cbranch_execnz .LBB0_971
; %bb.850:                              ;   in Loop: Header=BB0_625 Depth=2
	s_or_saveexec_b32 s22, s22
	v_mov_b32_e32 v97, 0x7f800001
	s_xor_b32 exec_lo, exec_lo, s22
	s_cbranch_execnz .LBB0_974
.LBB0_851:                              ;   in Loop: Header=BB0_625 Depth=2
	s_or_b32 exec_lo, exec_lo, s22
	s_and_saveexec_b32 s22, s10
	s_cbranch_execz .LBB0_853
.LBB0_852:                              ;   in Loop: Header=BB0_625 Depth=2
	v_bfe_u32 v97, v19, 24, 3
	v_bfe_u32 v58, v19, 27, 4
	v_ffbh_u32_e32 v56, v97
	v_cmp_eq_u32_e32 vcc_lo, 0, v58
	v_min_u32_e32 v56, 32, v56
	v_subrev_nc_u32_e32 v57, 28, v56
	v_sub_nc_u32_e32 v56, 29, v56
	v_lshlrev_b32_sdwa v57, v57, v19 dst_sel:DWORD dst_unused:UNUSED_PAD src0_sel:DWORD src1_sel:BYTE_3
	v_cndmask_b32_e32 v56, v58, v56, vcc_lo
	v_and_b32_e32 v19, 0x80000000, v19
	v_and_b32_e32 v57, 7, v57
	v_lshl_add_u32 v56, v56, 23, 0x3b800000
	v_cndmask_b32_e32 v97, v97, v57, vcc_lo
	v_lshlrev_b32_e32 v97, 20, v97
	v_or3_b32 v97, v19, v56, v97
.LBB0_853:                              ;   in Loop: Header=BB0_625 Depth=2
	s_or_b32 exec_lo, exec_lo, s22
	v_cmp_gt_i16_sdwa s22, v81, v40 src0_sel:BYTE_3 src1_sel:DWORD
	s_mov_b32 s10, 0
	s_and_saveexec_b32 s23, s22
	s_xor_b32 s22, exec_lo, s23
	s_cbranch_execnz .LBB0_975
; %bb.854:                              ;   in Loop: Header=BB0_625 Depth=2
	s_or_saveexec_b32 s22, s22
	v_mov_b32_e32 v19, 0x7f800001
	s_xor_b32 exec_lo, exec_lo, s22
	s_cbranch_execnz .LBB0_978
.LBB0_855:                              ;   in Loop: Header=BB0_625 Depth=2
	s_or_b32 exec_lo, exec_lo, s22
	s_and_saveexec_b32 s22, s10
	s_cbranch_execz .LBB0_857
.LBB0_856:                              ;   in Loop: Header=BB0_625 Depth=2
	v_bfe_u32 v19, v81, 24, 3
	v_bfe_u32 v58, v81, 27, 4
	v_ffbh_u32_e32 v56, v19
	v_cmp_eq_u32_e32 vcc_lo, 0, v58
	v_min_u32_e32 v56, 32, v56
	v_subrev_nc_u32_e32 v57, 28, v56
	v_sub_nc_u32_e32 v56, 29, v56
	v_lshlrev_b32_sdwa v57, v57, v81 dst_sel:DWORD dst_unused:UNUSED_PAD src0_sel:DWORD src1_sel:BYTE_3
	v_cndmask_b32_e32 v56, v58, v56, vcc_lo
	v_and_b32_e32 v81, 0x80000000, v81
	v_and_b32_e32 v57, 7, v57
	v_lshl_add_u32 v56, v56, 23, 0x3b800000
	v_cndmask_b32_e32 v19, v19, v57, vcc_lo
	v_lshlrev_b32_e32 v19, 20, v19
	v_or3_b32 v19, v81, v56, v19
.LBB0_857:                              ;   in Loop: Header=BB0_625 Depth=2
	s_or_b32 exec_lo, exec_lo, s22
	v_add_f32_e32 v19, v97, v19
	v_and_b32_e32 v81, 0x7f800000, v19
	v_cmp_ne_u32_e32 vcc_lo, 0x7f800000, v81
	v_mov_b32_e32 v81, 0x8000
	s_and_saveexec_b32 s22, vcc_lo
	s_cbranch_execz .LBB0_865
; %bb.858:                              ;   in Loop: Header=BB0_625 Depth=2
	v_mov_b32_e32 v81, 0
	s_mov_b32 s23, exec_lo
	v_cmpx_ne_u32_e32 0, v19
	s_cbranch_execz .LBB0_864
; %bb.859:                              ;   in Loop: Header=BB0_625 Depth=2
	v_bfe_u32 v81, v19, 23, 8
	v_and_b32_e32 v97, 0x7fffff, v19
	v_sub_nc_u32_e32 v56, 0x78, v81
	v_cmp_gt_u32_e32 vcc_lo, 0x79, v81
	v_or_b32_e32 v57, 0x800000, v97
	v_cndmask_b32_e32 v56, 0, v56, vcc_lo
	v_cmp_eq_u32_e32 vcc_lo, 0, v81
	v_add_nc_u32_e32 v81, 0xffffff89, v81
	v_cndmask_b32_e64 v56, v56, 0x77, vcc_lo
	v_cndmask_b32_e32 v97, v57, v97, vcc_lo
	v_cndmask_b32_e64 v81, v81, 0xffffff8a, vcc_lo
	v_lshl_add_u32 v57, 0x100000, v56, -1
	v_lshrrev_b32_e32 v58, v56, v97
	v_lshlrev_b32_e64 v60, v56, 0x80000
	v_add_nc_u32_e32 v56, v56, v81
	v_and_b32_e32 v97, v57, v97
	v_bfe_u32 v59, v58, 20, 1
	v_cmp_eq_u32_e64 s10, v97, v60
	v_add_nc_u32_e32 v57, -1, v59
	v_cndmask_b32_e64 v97, 0, v57, s10
	v_lshrrev_b32_e32 v57, 23, v58
	s_mov_b32 s10, exec_lo
	v_add_nc_u32_e32 v97, v97, v58
	v_xor_b32_e32 v57, 1, v57
	v_and_b32_e32 v81, 0xfffff, v97
	v_add_nc_u32_e32 v97, v81, v58
                                        ; implicit-def: $vgpr81
	v_cmpx_ne_u32_e64 v56, v57
	s_xor_b32 s10, exec_lo, s10
; %bb.860:                              ;   in Loop: Header=BB0_625 Depth=2
	v_cmp_lt_u32_e32 vcc_lo, 0xffffff, v97
	v_sub_nc_u32_e32 v81, v56, v57
	v_cndmask_b32_e64 v56, 0, 1, vcc_lo
	v_add_co_ci_u32_e64 v81, null, 0, v81, vcc_lo
	v_lshrrev_b32_e32 v97, v56, v97
; %bb.861:                              ;   in Loop: Header=BB0_625 Depth=2
	s_andn2_saveexec_b32 s10, s10
; %bb.862:                              ;   in Loop: Header=BB0_625 Depth=2
	v_bfe_u32 v81, v97, 23, 1
; %bb.863:                              ;   in Loop: Header=BB0_625 Depth=2
	s_or_b32 exec_lo, exec_lo, s10
	v_lshrrev_b32_e32 v97, 20, v97
	v_min_i32_e32 v56, 15, v81
	v_cmp_gt_i32_e32 vcc_lo, 16, v81
	v_and_b32_sdwa v19, v19, v41 dst_sel:DWORD dst_unused:UNUSED_PAD src0_sel:BYTE_3 src1_sel:DWORD
	v_lshlrev_b32_e32 v56, 3, v56
	v_cndmask_b32_e32 v97, 7, v97, vcc_lo
	v_and_b32_e32 v56, 0xf8, v56
	v_and_b32_e32 v57, 7, v97
	v_or_b32_e32 v81, v81, v97
	v_or3_b32 v19, v19, v56, v57
	v_cmp_ne_u32_e32 vcc_lo, 0, v81
	v_lshlrev_b32_e32 v19, 8, v19
	v_cndmask_b32_e32 v81, 0, v19, vcc_lo
.LBB0_864:                              ;   in Loop: Header=BB0_625 Depth=2
	s_or_b32 exec_lo, exec_lo, s23
.LBB0_865:                              ;   in Loop: Header=BB0_625 Depth=2
	s_or_b32 exec_lo, exec_lo, s22
	v_or_b32_e32 v20, v82, v20
	v_or_b32_e32 v17, v17, v96
	;; [unrolled: 1-line block ×4, first 2 shown]
	v_cmp_lt_u32_e32 vcc_lo, 7, v46
	s_mov_b32 s10, -1
	v_lshl_or_b32 v17, v17, 16, v20
	v_lshl_or_b32 v18, v18, 16, v19
	s_cmp_lg_u32 vcc_lo, exec_lo
	s_cbranch_scc0 .LBB0_881
; %bb.866:                              ;   in Loop: Header=BB0_625 Depth=2
	s_mov_b32 s22, exec_lo
	flat_store_byte v[70:71], v20
	v_cmpx_ne_u32_e32 1, v46
	s_cbranch_execz .LBB0_868
; %bb.867:                              ;   in Loop: Header=BB0_625 Depth=2
	v_lshrrev_b32_e32 v20, 8, v20
	flat_store_byte v[70:71], v20 offset:1
.LBB0_868:                              ;   in Loop: Header=BB0_625 Depth=2
	s_or_b32 exec_lo, exec_lo, s22
	s_mov_b32 s22, exec_lo
	v_cmpx_lt_u32_e32 2, v46
	s_cbranch_execz .LBB0_870
; %bb.869:                              ;   in Loop: Header=BB0_625 Depth=2
	flat_store_byte_d16_hi v[70:71], v17 offset:2
.LBB0_870:                              ;   in Loop: Header=BB0_625 Depth=2
	s_or_b32 exec_lo, exec_lo, s22
	s_mov_b32 s22, exec_lo
	v_cmpx_lt_u32_e32 3, v46
	s_cbranch_execz .LBB0_872
; %bb.871:                              ;   in Loop: Header=BB0_625 Depth=2
	v_lshrrev_b32_e32 v20, 24, v17
	flat_store_byte v[70:71], v20 offset:3
.LBB0_872:                              ;   in Loop: Header=BB0_625 Depth=2
	s_or_b32 exec_lo, exec_lo, s22
	s_mov_b32 s22, exec_lo
	v_cmpx_lt_u32_e32 4, v46
	s_cbranch_execz .LBB0_874
; %bb.873:                              ;   in Loop: Header=BB0_625 Depth=2
	flat_store_byte v[70:71], v19 offset:4
.LBB0_874:                              ;   in Loop: Header=BB0_625 Depth=2
	s_or_b32 exec_lo, exec_lo, s22
	s_mov_b32 s22, exec_lo
	v_cmpx_lt_u32_e32 5, v46
	s_cbranch_execz .LBB0_876
; %bb.875:                              ;   in Loop: Header=BB0_625 Depth=2
	v_lshrrev_b32_e32 v19, 8, v19
	flat_store_byte v[70:71], v19 offset:5
.LBB0_876:                              ;   in Loop: Header=BB0_625 Depth=2
	s_or_b32 exec_lo, exec_lo, s22
	s_mov_b32 s22, exec_lo
	v_cmpx_lt_u32_e32 6, v46
	s_cbranch_execz .LBB0_878
; %bb.877:                              ;   in Loop: Header=BB0_625 Depth=2
	flat_store_byte_d16_hi v[70:71], v18 offset:6
.LBB0_878:                              ;   in Loop: Header=BB0_625 Depth=2
	s_or_b32 exec_lo, exec_lo, s22
	s_and_saveexec_b32 s10, vcc_lo
	s_cbranch_execz .LBB0_880
; %bb.879:                              ;   in Loop: Header=BB0_625 Depth=2
	v_lshrrev_b32_e32 v19, 24, v18
	flat_store_byte v[70:71], v19 offset:7
.LBB0_880:                              ;   in Loop: Header=BB0_625 Depth=2
	s_or_b32 exec_lo, exec_lo, s10
	s_mov_b32 s10, 0
.LBB0_881:                              ;   in Loop: Header=BB0_625 Depth=2
	s_and_b32 vcc_lo, exec_lo, s10
	s_cbranch_vccz .LBB0_624
; %bb.882:                              ;   in Loop: Header=BB0_625 Depth=2
	global_store_dwordx2 v[70:71], v[17:18], off
	s_branch .LBB0_624
.LBB0_883:                              ;   in Loop: Header=BB0_625 Depth=2
	v_cmp_eq_u16_sdwa s24, v54, v41 src0_sel:BYTE_0 src1_sel:DWORD
	s_mov_b32 s10, -1
	s_and_saveexec_b32 s23, s24
; %bb.884:                              ;   in Loop: Header=BB0_625 Depth=2
	s_xor_b32 s10, exec_lo, -1
; %bb.885:                              ;   in Loop: Header=BB0_625 Depth=2
	s_or_b32 exec_lo, exec_lo, s23
	s_and_b32 s10, s10, exec_lo
	s_or_saveexec_b32 s22, s22
	v_mov_b32_e32 v20, 0x7f800001
	s_xor_b32 exec_lo, exec_lo, s22
	s_cbranch_execz .LBB0_643
.LBB0_886:                              ;   in Loop: Header=BB0_625 Depth=2
	v_cmp_ne_u16_sdwa s23, v54, v55 src0_sel:BYTE_0 src1_sel:DWORD
	v_mov_b32_e32 v20, 0
	s_andn2_b32 s10, s10, exec_lo
	s_and_b32 s23, s23, exec_lo
	s_or_b32 s10, s10, s23
	s_or_b32 exec_lo, exec_lo, s22
	s_and_saveexec_b32 s22, s10
	s_cbranch_execnz .LBB0_644
	s_branch .LBB0_645
.LBB0_887:                              ;   in Loop: Header=BB0_625 Depth=2
	v_cmp_eq_u16_sdwa s24, v54, v41 src0_sel:BYTE_1 src1_sel:DWORD
	s_mov_b32 s10, -1
	s_and_saveexec_b32 s23, s24
; %bb.888:                              ;   in Loop: Header=BB0_625 Depth=2
	s_xor_b32 s10, exec_lo, -1
; %bb.889:                              ;   in Loop: Header=BB0_625 Depth=2
	s_or_b32 exec_lo, exec_lo, s23
	s_and_b32 s10, s10, exec_lo
	s_or_saveexec_b32 s22, s22
	v_mov_b32_e32 v81, 0x7f800001
	s_xor_b32 exec_lo, exec_lo, s22
	s_cbranch_execz .LBB0_655
.LBB0_890:                              ;   in Loop: Header=BB0_625 Depth=2
	v_cmp_ne_u16_sdwa s23, v54, v55 src0_sel:BYTE_1 src1_sel:DWORD
	v_mov_b32_e32 v81, 0
	s_andn2_b32 s10, s10, exec_lo
	s_and_b32 s23, s23, exec_lo
	s_or_b32 s10, s10, s23
	s_or_b32 exec_lo, exec_lo, s22
	s_and_saveexec_b32 s22, s10
	s_cbranch_execnz .LBB0_656
	s_branch .LBB0_657
.LBB0_891:                              ;   in Loop: Header=BB0_625 Depth=2
	s_mov_b32 s10, -1
	s_mov_b32 s23, exec_lo
	v_cmpx_eq_u16_e32 0x80, v96
; %bb.892:                              ;   in Loop: Header=BB0_625 Depth=2
	s_xor_b32 s10, exec_lo, -1
; %bb.893:                              ;   in Loop: Header=BB0_625 Depth=2
	s_or_b32 exec_lo, exec_lo, s23
	s_and_b32 s10, s10, exec_lo
                                        ; implicit-def: $vgpr96
	s_or_saveexec_b32 s22, s22
	v_mov_b32_e32 v81, 0x7f800001
	s_xor_b32 exec_lo, exec_lo, s22
	s_cbranch_execz .LBB0_667
.LBB0_894:                              ;   in Loop: Header=BB0_625 Depth=2
	v_cmp_ne_u16_e32 vcc_lo, 0, v96
	v_mov_b32_e32 v81, 0
	s_andn2_b32 s10, s10, exec_lo
	s_and_b32 s23, vcc_lo, exec_lo
	s_or_b32 s10, s10, s23
	s_or_b32 exec_lo, exec_lo, s22
	s_and_saveexec_b32 s22, s10
	s_cbranch_execnz .LBB0_668
	s_branch .LBB0_669
.LBB0_895:                              ;   in Loop: Header=BB0_625 Depth=2
	v_cmp_eq_u16_sdwa s24, v54, v41 src0_sel:BYTE_3 src1_sel:DWORD
	s_mov_b32 s10, -1
	s_and_saveexec_b32 s23, s24
; %bb.896:                              ;   in Loop: Header=BB0_625 Depth=2
	s_xor_b32 s10, exec_lo, -1
; %bb.897:                              ;   in Loop: Header=BB0_625 Depth=2
	s_or_b32 exec_lo, exec_lo, s23
	s_and_b32 s10, s10, exec_lo
	s_or_saveexec_b32 s22, s22
	v_mov_b32_e32 v81, 0x7f800001
	s_xor_b32 exec_lo, exec_lo, s22
	s_cbranch_execz .LBB0_679
.LBB0_898:                              ;   in Loop: Header=BB0_625 Depth=2
	v_cmp_ne_u16_sdwa s23, v54, v55 src0_sel:BYTE_3 src1_sel:DWORD
	v_mov_b32_e32 v81, 0
	s_andn2_b32 s10, s10, exec_lo
	s_and_b32 s23, s23, exec_lo
	s_or_b32 s10, s10, s23
	s_or_b32 exec_lo, exec_lo, s22
	s_and_saveexec_b32 s22, s10
	s_cbranch_execnz .LBB0_680
	s_branch .LBB0_681
.LBB0_899:                              ;   in Loop: Header=BB0_625 Depth=2
	v_cmp_eq_u16_sdwa s24, v81, v41 src0_sel:BYTE_0 src1_sel:DWORD
	s_mov_b32 s10, -1
	s_and_saveexec_b32 s23, s24
; %bb.900:                              ;   in Loop: Header=BB0_625 Depth=2
	s_xor_b32 s10, exec_lo, -1
; %bb.901:                              ;   in Loop: Header=BB0_625 Depth=2
	s_or_b32 exec_lo, exec_lo, s23
	s_and_b32 s10, s10, exec_lo
	s_or_saveexec_b32 s22, s22
	v_mov_b32_e32 v18, 0x7f800001
	s_xor_b32 exec_lo, exec_lo, s22
	s_cbranch_execz .LBB0_691
.LBB0_902:                              ;   in Loop: Header=BB0_625 Depth=2
	v_cmp_ne_u16_sdwa s23, v81, v55 src0_sel:BYTE_0 src1_sel:DWORD
	v_mov_b32_e32 v18, 0
	s_andn2_b32 s10, s10, exec_lo
	s_and_b32 s23, s23, exec_lo
	s_or_b32 s10, s10, s23
	s_or_b32 exec_lo, exec_lo, s22
	s_and_saveexec_b32 s22, s10
	s_cbranch_execnz .LBB0_692
	s_branch .LBB0_693
.LBB0_903:                              ;   in Loop: Header=BB0_625 Depth=2
	v_cmp_eq_u16_sdwa s24, v81, v41 src0_sel:BYTE_1 src1_sel:DWORD
	s_mov_b32 s10, -1
	s_and_saveexec_b32 s23, s24
; %bb.904:                              ;   in Loop: Header=BB0_625 Depth=2
	s_xor_b32 s10, exec_lo, -1
; %bb.905:                              ;   in Loop: Header=BB0_625 Depth=2
	s_or_b32 exec_lo, exec_lo, s23
	s_and_b32 s10, s10, exec_lo
	s_or_saveexec_b32 s22, s22
	v_mov_b32_e32 v18, 0x7f800001
	s_xor_b32 exec_lo, exec_lo, s22
	s_cbranch_execz .LBB0_703
.LBB0_906:                              ;   in Loop: Header=BB0_625 Depth=2
	v_cmp_ne_u16_sdwa s23, v81, v55 src0_sel:BYTE_1 src1_sel:DWORD
	v_mov_b32_e32 v18, 0
	s_andn2_b32 s10, s10, exec_lo
	s_and_b32 s23, s23, exec_lo
	s_or_b32 s10, s10, s23
	s_or_b32 exec_lo, exec_lo, s22
	s_and_saveexec_b32 s22, s10
	s_cbranch_execnz .LBB0_704
	s_branch .LBB0_705
.LBB0_907:                              ;   in Loop: Header=BB0_625 Depth=2
	s_mov_b32 s10, -1
	s_mov_b32 s23, exec_lo
	v_cmpx_eq_u16_e32 0x80, v56
; %bb.908:                              ;   in Loop: Header=BB0_625 Depth=2
	s_xor_b32 s10, exec_lo, -1
; %bb.909:                              ;   in Loop: Header=BB0_625 Depth=2
	s_or_b32 exec_lo, exec_lo, s23
	s_and_b32 s10, s10, exec_lo
                                        ; implicit-def: $vgpr56
	s_or_saveexec_b32 s22, s22
	v_mov_b32_e32 v18, 0x7f800001
	s_xor_b32 exec_lo, exec_lo, s22
	s_cbranch_execz .LBB0_715
.LBB0_910:                              ;   in Loop: Header=BB0_625 Depth=2
	v_cmp_ne_u16_e32 vcc_lo, 0, v56
	v_mov_b32_e32 v18, 0
	s_andn2_b32 s10, s10, exec_lo
	s_and_b32 s23, vcc_lo, exec_lo
	s_or_b32 s10, s10, s23
	s_or_b32 exec_lo, exec_lo, s22
	s_and_saveexec_b32 s22, s10
	s_cbranch_execnz .LBB0_716
	s_branch .LBB0_717
.LBB0_911:                              ;   in Loop: Header=BB0_625 Depth=2
	v_cmp_eq_u16_sdwa s24, v81, v41 src0_sel:BYTE_3 src1_sel:DWORD
	s_mov_b32 s10, -1
	s_and_saveexec_b32 s23, s24
; %bb.912:                              ;   in Loop: Header=BB0_625 Depth=2
	s_xor_b32 s10, exec_lo, -1
; %bb.913:                              ;   in Loop: Header=BB0_625 Depth=2
	s_or_b32 exec_lo, exec_lo, s23
	s_and_b32 s10, s10, exec_lo
	s_or_saveexec_b32 s22, s22
	v_mov_b32_e32 v56, 0x7f800001
	s_xor_b32 exec_lo, exec_lo, s22
	s_cbranch_execz .LBB0_727
.LBB0_914:                              ;   in Loop: Header=BB0_625 Depth=2
	v_cmp_ne_u16_sdwa s23, v81, v55 src0_sel:BYTE_3 src1_sel:DWORD
	v_mov_b32_e32 v56, 0
	s_andn2_b32 s10, s10, exec_lo
	s_and_b32 s23, s23, exec_lo
	s_or_b32 s10, s10, s23
	s_or_b32 exec_lo, exec_lo, s22
	s_and_saveexec_b32 s22, s10
	s_cbranch_execnz .LBB0_728
	s_branch .LBB0_729
.LBB0_915:                              ;   in Loop: Header=BB0_625 Depth=2
	v_cmp_eq_u16_sdwa s24, v17, v41 src0_sel:BYTE_0 src1_sel:DWORD
	s_mov_b32 s10, -1
	s_and_saveexec_b32 s23, s24
; %bb.916:                              ;   in Loop: Header=BB0_625 Depth=2
	s_xor_b32 s10, exec_lo, -1
; %bb.917:                              ;   in Loop: Header=BB0_625 Depth=2
	s_or_b32 exec_lo, exec_lo, s23
	s_and_b32 s10, s10, exec_lo
	s_or_saveexec_b32 s22, s22
	v_mov_b32_e32 v57, 0x7f800001
	s_xor_b32 exec_lo, exec_lo, s22
	s_cbranch_execz .LBB0_739
.LBB0_918:                              ;   in Loop: Header=BB0_625 Depth=2
	v_cmp_ne_u16_sdwa s23, v17, v55 src0_sel:BYTE_0 src1_sel:DWORD
	v_mov_b32_e32 v57, 0
	s_andn2_b32 s10, s10, exec_lo
	s_and_b32 s23, s23, exec_lo
	s_or_b32 s10, s10, s23
	s_or_b32 exec_lo, exec_lo, s22
	s_and_saveexec_b32 s22, s10
	s_cbranch_execnz .LBB0_740
	s_branch .LBB0_741
.LBB0_919:                              ;   in Loop: Header=BB0_625 Depth=2
	v_cmp_eq_u16_sdwa s24, v56, v41 src0_sel:BYTE_0 src1_sel:DWORD
	s_mov_b32 s10, -1
	s_and_saveexec_b32 s23, s24
; %bb.920:                              ;   in Loop: Header=BB0_625 Depth=2
	s_xor_b32 s10, exec_lo, -1
; %bb.921:                              ;   in Loop: Header=BB0_625 Depth=2
	s_or_b32 exec_lo, exec_lo, s23
	s_and_b32 s10, s10, exec_lo
	s_or_saveexec_b32 s22, s22
	v_mov_b32_e32 v20, 0x7f800001
	s_xor_b32 exec_lo, exec_lo, s22
	s_cbranch_execz .LBB0_743
.LBB0_922:                              ;   in Loop: Header=BB0_625 Depth=2
	v_cmp_ne_u16_sdwa s23, v56, v55 src0_sel:BYTE_0 src1_sel:DWORD
	v_mov_b32_e32 v20, 0
	s_andn2_b32 s10, s10, exec_lo
	s_and_b32 s23, s23, exec_lo
	s_or_b32 s10, s10, s23
	s_or_b32 exec_lo, exec_lo, s22
	s_and_saveexec_b32 s22, s10
	s_cbranch_execnz .LBB0_744
	s_branch .LBB0_745
.LBB0_923:                              ;   in Loop: Header=BB0_625 Depth=2
	v_cmp_eq_u16_sdwa s24, v17, v41 src0_sel:BYTE_1 src1_sel:DWORD
	s_mov_b32 s10, -1
	s_and_saveexec_b32 s23, s24
; %bb.924:                              ;   in Loop: Header=BB0_625 Depth=2
	s_xor_b32 s10, exec_lo, -1
; %bb.925:                              ;   in Loop: Header=BB0_625 Depth=2
	s_or_b32 exec_lo, exec_lo, s23
	s_and_b32 s10, s10, exec_lo
	s_or_saveexec_b32 s22, s22
	v_mov_b32_e32 v82, 0x7f800001
	s_xor_b32 exec_lo, exec_lo, s22
	s_cbranch_execz .LBB0_755
.LBB0_926:                              ;   in Loop: Header=BB0_625 Depth=2
	v_cmp_ne_u16_sdwa s23, v17, v55 src0_sel:BYTE_1 src1_sel:DWORD
	v_mov_b32_e32 v82, 0
	s_andn2_b32 s10, s10, exec_lo
	s_and_b32 s23, s23, exec_lo
	s_or_b32 s10, s10, s23
	s_or_b32 exec_lo, exec_lo, s22
	s_and_saveexec_b32 s22, s10
	s_cbranch_execnz .LBB0_756
	s_branch .LBB0_757
.LBB0_927:                              ;   in Loop: Header=BB0_625 Depth=2
	v_cmp_eq_u16_sdwa s24, v56, v41 src0_sel:BYTE_1 src1_sel:DWORD
	s_mov_b32 s10, -1
	s_and_saveexec_b32 s23, s24
; %bb.928:                              ;   in Loop: Header=BB0_625 Depth=2
	s_xor_b32 s10, exec_lo, -1
; %bb.929:                              ;   in Loop: Header=BB0_625 Depth=2
	s_or_b32 exec_lo, exec_lo, s23
	s_and_b32 s10, s10, exec_lo
	s_or_saveexec_b32 s22, s22
	v_mov_b32_e32 v57, 0x7f800001
	s_xor_b32 exec_lo, exec_lo, s22
	s_cbranch_execz .LBB0_759
.LBB0_930:                              ;   in Loop: Header=BB0_625 Depth=2
	v_cmp_ne_u16_sdwa s23, v56, v55 src0_sel:BYTE_1 src1_sel:DWORD
	v_mov_b32_e32 v57, 0
	s_andn2_b32 s10, s10, exec_lo
	s_and_b32 s23, s23, exec_lo
	s_or_b32 s10, s10, s23
	s_or_b32 exec_lo, exec_lo, s22
	s_and_saveexec_b32 s22, s10
	s_cbranch_execnz .LBB0_760
	s_branch .LBB0_761
.LBB0_931:                              ;   in Loop: Header=BB0_625 Depth=2
	s_mov_b32 s10, -1
	s_mov_b32 s23, exec_lo
	v_cmpx_eq_u16_e32 0x80, v58
; %bb.932:                              ;   in Loop: Header=BB0_625 Depth=2
	s_xor_b32 s10, exec_lo, -1
; %bb.933:                              ;   in Loop: Header=BB0_625 Depth=2
	s_or_b32 exec_lo, exec_lo, s23
	s_and_b32 s10, s10, exec_lo
                                        ; implicit-def: $vgpr58
	s_or_saveexec_b32 s22, s22
	v_mov_b32_e32 v57, 0x7f800001
	s_xor_b32 exec_lo, exec_lo, s22
	s_cbranch_execz .LBB0_771
.LBB0_934:                              ;   in Loop: Header=BB0_625 Depth=2
	v_cmp_ne_u16_e32 vcc_lo, 0, v58
	v_mov_b32_e32 v57, 0
	s_andn2_b32 s10, s10, exec_lo
	s_and_b32 s23, vcc_lo, exec_lo
	s_or_b32 s10, s10, s23
	s_or_b32 exec_lo, exec_lo, s22
	s_and_saveexec_b32 s22, s10
	s_cbranch_execnz .LBB0_772
	s_branch .LBB0_773
.LBB0_935:                              ;   in Loop: Header=BB0_625 Depth=2
	v_cmp_eq_u16_sdwa s24, v96, v41 src0_sel:BYTE_0 src1_sel:DWORD
	s_mov_b32 s10, -1
	s_and_saveexec_b32 s23, s24
; %bb.936:                              ;   in Loop: Header=BB0_625 Depth=2
	s_xor_b32 s10, exec_lo, -1
; %bb.937:                              ;   in Loop: Header=BB0_625 Depth=2
	s_or_b32 exec_lo, exec_lo, s23
	s_and_b32 s10, s10, exec_lo
	s_or_saveexec_b32 s22, s22
	v_mov_b32_e32 v58, 0x7f800001
	s_xor_b32 exec_lo, exec_lo, s22
	s_cbranch_execz .LBB0_775
.LBB0_938:                              ;   in Loop: Header=BB0_625 Depth=2
	v_cmp_ne_u16_sdwa s23, v96, v55 src0_sel:BYTE_0 src1_sel:DWORD
	v_mov_b32_e32 v58, 0
	s_andn2_b32 s10, s10, exec_lo
	s_and_b32 s23, s23, exec_lo
	s_or_b32 s10, s10, s23
	s_or_b32 exec_lo, exec_lo, s22
	v_lshl_or_b32 v47, v96, 16, v56
	s_and_saveexec_b32 s22, s10
	s_cbranch_execnz .LBB0_776
	s_branch .LBB0_777
.LBB0_939:                              ;   in Loop: Header=BB0_625 Depth=2
	v_cmp_eq_u16_sdwa s24, v17, v41 src0_sel:BYTE_3 src1_sel:DWORD
	s_mov_b32 s10, -1
	s_and_saveexec_b32 s23, s24
; %bb.940:                              ;   in Loop: Header=BB0_625 Depth=2
	s_xor_b32 s10, exec_lo, -1
; %bb.941:                              ;   in Loop: Header=BB0_625 Depth=2
	s_or_b32 exec_lo, exec_lo, s23
	s_and_b32 s10, s10, exec_lo
	s_or_saveexec_b32 s22, s22
	v_mov_b32_e32 v56, 0x7f800001
	s_xor_b32 exec_lo, exec_lo, s22
	s_cbranch_execz .LBB0_787
.LBB0_942:                              ;   in Loop: Header=BB0_625 Depth=2
	v_cmp_ne_u16_sdwa s23, v17, v55 src0_sel:BYTE_3 src1_sel:DWORD
	v_mov_b32_e32 v56, 0
	s_andn2_b32 s10, s10, exec_lo
	s_and_b32 s23, s23, exec_lo
	s_or_b32 s10, s10, s23
	s_or_b32 exec_lo, exec_lo, s22
	s_and_saveexec_b32 s22, s10
	s_cbranch_execnz .LBB0_788
	s_branch .LBB0_789
.LBB0_943:                              ;   in Loop: Header=BB0_625 Depth=2
	v_cmp_eq_u16_sdwa s24, v47, v41 src0_sel:BYTE_3 src1_sel:DWORD
	s_mov_b32 s10, -1
	s_and_saveexec_b32 s23, s24
; %bb.944:                              ;   in Loop: Header=BB0_625 Depth=2
	s_xor_b32 s10, exec_lo, -1
; %bb.945:                              ;   in Loop: Header=BB0_625 Depth=2
	s_or_b32 exec_lo, exec_lo, s23
	s_and_b32 s10, s10, exec_lo
	s_or_saveexec_b32 s22, s22
	v_mov_b32_e32 v17, 0x7f800001
	s_xor_b32 exec_lo, exec_lo, s22
	s_cbranch_execz .LBB0_791
.LBB0_946:                              ;   in Loop: Header=BB0_625 Depth=2
	v_cmp_ne_u16_sdwa s23, v47, v55 src0_sel:BYTE_3 src1_sel:DWORD
	v_mov_b32_e32 v17, 0
	s_andn2_b32 s10, s10, exec_lo
	s_and_b32 s23, s23, exec_lo
	s_or_b32 s10, s10, s23
	s_or_b32 exec_lo, exec_lo, s22
	s_and_saveexec_b32 s22, s10
	s_cbranch_execnz .LBB0_792
	s_branch .LBB0_793
.LBB0_947:                              ;   in Loop: Header=BB0_625 Depth=2
	v_cmp_eq_u16_sdwa s24, v19, v41 src0_sel:BYTE_0 src1_sel:DWORD
	s_mov_b32 s10, -1
	s_and_saveexec_b32 s23, s24
; %bb.948:                              ;   in Loop: Header=BB0_625 Depth=2
	s_xor_b32 s10, exec_lo, -1
; %bb.949:                              ;   in Loop: Header=BB0_625 Depth=2
	s_or_b32 exec_lo, exec_lo, s23
	s_and_b32 s10, s10, exec_lo
	s_or_saveexec_b32 s22, s22
	v_mov_b32_e32 v47, 0x7f800001
	s_xor_b32 exec_lo, exec_lo, s22
	s_cbranch_execz .LBB0_803
.LBB0_950:                              ;   in Loop: Header=BB0_625 Depth=2
	v_cmp_ne_u16_sdwa s23, v19, v55 src0_sel:BYTE_0 src1_sel:DWORD
	v_mov_b32_e32 v47, 0
	s_andn2_b32 s10, s10, exec_lo
	s_and_b32 s23, s23, exec_lo
	s_or_b32 s10, s10, s23
	s_or_b32 exec_lo, exec_lo, s22
	s_and_saveexec_b32 s22, s10
	s_cbranch_execnz .LBB0_804
	s_branch .LBB0_805
.LBB0_951:                              ;   in Loop: Header=BB0_625 Depth=2
	v_cmp_eq_u16_sdwa s24, v97, v41 src0_sel:BYTE_0 src1_sel:DWORD
	s_mov_b32 s10, -1
	s_and_saveexec_b32 s23, s24
; %bb.952:                              ;   in Loop: Header=BB0_625 Depth=2
	s_xor_b32 s10, exec_lo, -1
; %bb.953:                              ;   in Loop: Header=BB0_625 Depth=2
	s_or_b32 exec_lo, exec_lo, s23
	s_and_b32 s10, s10, exec_lo
	s_or_saveexec_b32 s22, s22
	v_mov_b32_e32 v54, 0x7f800001
	s_xor_b32 exec_lo, exec_lo, s22
	s_cbranch_execz .LBB0_807
.LBB0_954:                              ;   in Loop: Header=BB0_625 Depth=2
	v_cmp_ne_u16_sdwa s23, v97, v55 src0_sel:BYTE_0 src1_sel:DWORD
	v_mov_b32_e32 v54, 0
	s_andn2_b32 s10, s10, exec_lo
	s_and_b32 s23, s23, exec_lo
	s_or_b32 s10, s10, s23
	s_or_b32 exec_lo, exec_lo, s22
	s_and_saveexec_b32 s22, s10
	s_cbranch_execnz .LBB0_808
	s_branch .LBB0_809
.LBB0_955:                              ;   in Loop: Header=BB0_625 Depth=2
	v_cmp_eq_u16_sdwa s24, v19, v41 src0_sel:BYTE_1 src1_sel:DWORD
	s_mov_b32 s10, -1
	s_and_saveexec_b32 s23, s24
; %bb.956:                              ;   in Loop: Header=BB0_625 Depth=2
	s_xor_b32 s10, exec_lo, -1
; %bb.957:                              ;   in Loop: Header=BB0_625 Depth=2
	s_or_b32 exec_lo, exec_lo, s23
	s_and_b32 s10, s10, exec_lo
	s_or_saveexec_b32 s22, s22
	v_mov_b32_e32 v47, 0x7f800001
	s_xor_b32 exec_lo, exec_lo, s22
	s_cbranch_execz .LBB0_819
.LBB0_958:                              ;   in Loop: Header=BB0_625 Depth=2
	v_cmp_ne_u16_sdwa s23, v19, v55 src0_sel:BYTE_1 src1_sel:DWORD
	v_mov_b32_e32 v47, 0
	s_andn2_b32 s10, s10, exec_lo
	s_and_b32 s23, s23, exec_lo
	s_or_b32 s10, s10, s23
	s_or_b32 exec_lo, exec_lo, s22
	s_and_saveexec_b32 s22, s10
	s_cbranch_execnz .LBB0_820
	s_branch .LBB0_821
.LBB0_959:                              ;   in Loop: Header=BB0_625 Depth=2
	v_cmp_eq_u16_sdwa s24, v97, v41 src0_sel:BYTE_1 src1_sel:DWORD
	s_mov_b32 s10, -1
	s_and_saveexec_b32 s23, s24
; %bb.960:                              ;   in Loop: Header=BB0_625 Depth=2
	s_xor_b32 s10, exec_lo, -1
; %bb.961:                              ;   in Loop: Header=BB0_625 Depth=2
	s_or_b32 exec_lo, exec_lo, s23
	s_and_b32 s10, s10, exec_lo
	s_or_saveexec_b32 s22, s22
	v_mov_b32_e32 v56, 0x7f800001
	s_xor_b32 exec_lo, exec_lo, s22
	s_cbranch_execz .LBB0_823
.LBB0_962:                              ;   in Loop: Header=BB0_625 Depth=2
	v_cmp_ne_u16_sdwa s23, v97, v55 src0_sel:BYTE_1 src1_sel:DWORD
	v_mov_b32_e32 v56, 0
	s_andn2_b32 s10, s10, exec_lo
	s_and_b32 s23, s23, exec_lo
	s_or_b32 s10, s10, s23
	s_or_b32 exec_lo, exec_lo, s22
	s_and_saveexec_b32 s22, s10
	s_cbranch_execnz .LBB0_824
	s_branch .LBB0_825
.LBB0_963:                              ;   in Loop: Header=BB0_625 Depth=2
	s_mov_b32 s10, -1
	s_mov_b32 s23, exec_lo
	v_cmpx_eq_u16_e32 0x80, v57
; %bb.964:                              ;   in Loop: Header=BB0_625 Depth=2
	s_xor_b32 s10, exec_lo, -1
; %bb.965:                              ;   in Loop: Header=BB0_625 Depth=2
	s_or_b32 exec_lo, exec_lo, s23
	s_and_b32 s10, s10, exec_lo
                                        ; implicit-def: $vgpr57
	s_or_saveexec_b32 s22, s22
	v_mov_b32_e32 v56, 0x7f800001
	s_xor_b32 exec_lo, exec_lo, s22
	s_cbranch_execz .LBB0_835
.LBB0_966:                              ;   in Loop: Header=BB0_625 Depth=2
	v_cmp_ne_u16_e32 vcc_lo, 0, v57
	v_mov_b32_e32 v56, 0
	s_andn2_b32 s10, s10, exec_lo
	s_and_b32 s23, vcc_lo, exec_lo
	s_or_b32 s10, s10, s23
	s_or_b32 exec_lo, exec_lo, s22
	s_and_saveexec_b32 s22, s10
	s_cbranch_execnz .LBB0_836
	s_branch .LBB0_837
.LBB0_967:                              ;   in Loop: Header=BB0_625 Depth=2
	v_cmp_eq_u16_sdwa s24, v18, v41 src0_sel:BYTE_0 src1_sel:DWORD
	s_mov_b32 s10, -1
	s_and_saveexec_b32 s23, s24
; %bb.968:                              ;   in Loop: Header=BB0_625 Depth=2
	s_xor_b32 s10, exec_lo, -1
; %bb.969:                              ;   in Loop: Header=BB0_625 Depth=2
	s_or_b32 exec_lo, exec_lo, s23
	s_and_b32 s10, s10, exec_lo
	s_or_saveexec_b32 s22, s22
	v_mov_b32_e32 v57, 0x7f800001
	s_xor_b32 exec_lo, exec_lo, s22
	s_cbranch_execz .LBB0_839
.LBB0_970:                              ;   in Loop: Header=BB0_625 Depth=2
	v_cmp_ne_u16_sdwa s23, v18, v55 src0_sel:BYTE_0 src1_sel:DWORD
	v_mov_b32_e32 v57, 0
	s_andn2_b32 s10, s10, exec_lo
	s_and_b32 s23, s23, exec_lo
	s_or_b32 s10, s10, s23
	s_or_b32 exec_lo, exec_lo, s22
	v_lshl_or_b32 v81, v18, 16, v97
	s_and_saveexec_b32 s22, s10
	s_cbranch_execnz .LBB0_840
	s_branch .LBB0_841
.LBB0_971:                              ;   in Loop: Header=BB0_625 Depth=2
	v_cmp_eq_u16_sdwa s24, v19, v41 src0_sel:BYTE_3 src1_sel:DWORD
	s_mov_b32 s10, -1
	s_and_saveexec_b32 s23, s24
; %bb.972:                              ;   in Loop: Header=BB0_625 Depth=2
	s_xor_b32 s10, exec_lo, -1
; %bb.973:                              ;   in Loop: Header=BB0_625 Depth=2
	s_or_b32 exec_lo, exec_lo, s23
	s_and_b32 s10, s10, exec_lo
	s_or_saveexec_b32 s22, s22
	v_mov_b32_e32 v97, 0x7f800001
	s_xor_b32 exec_lo, exec_lo, s22
	s_cbranch_execz .LBB0_851
.LBB0_974:                              ;   in Loop: Header=BB0_625 Depth=2
	v_cmp_ne_u16_sdwa s23, v19, v55 src0_sel:BYTE_3 src1_sel:DWORD
	v_mov_b32_e32 v97, 0
	s_andn2_b32 s10, s10, exec_lo
	s_and_b32 s23, s23, exec_lo
	s_or_b32 s10, s10, s23
	s_or_b32 exec_lo, exec_lo, s22
	s_and_saveexec_b32 s22, s10
	s_cbranch_execnz .LBB0_852
	s_branch .LBB0_853
.LBB0_975:                              ;   in Loop: Header=BB0_625 Depth=2
	v_cmp_eq_u16_sdwa s24, v81, v41 src0_sel:BYTE_3 src1_sel:DWORD
	s_mov_b32 s10, -1
	s_and_saveexec_b32 s23, s24
; %bb.976:                              ;   in Loop: Header=BB0_625 Depth=2
	s_xor_b32 s10, exec_lo, -1
; %bb.977:                              ;   in Loop: Header=BB0_625 Depth=2
	s_or_b32 exec_lo, exec_lo, s23
	s_and_b32 s10, s10, exec_lo
	s_or_saveexec_b32 s22, s22
	v_mov_b32_e32 v19, 0x7f800001
	s_xor_b32 exec_lo, exec_lo, s22
	s_cbranch_execz .LBB0_855
.LBB0_978:                              ;   in Loop: Header=BB0_625 Depth=2
	v_cmp_ne_u16_sdwa s23, v81, v55 src0_sel:BYTE_3 src1_sel:DWORD
	v_mov_b32_e32 v19, 0
	s_andn2_b32 s10, s10, exec_lo
	s_and_b32 s23, s23, exec_lo
	s_or_b32 s10, s10, s23
	s_or_b32 exec_lo, exec_lo, s22
	s_and_saveexec_b32 s22, s10
	s_cbranch_execnz .LBB0_856
	s_branch .LBB0_857
.LBB0_979:                              ;   in Loop: Header=BB0_44 Depth=1
	s_or_b32 exec_lo, exec_lo, s12
	s_or_b32 exec_lo, exec_lo, s11
	s_and_saveexec_b32 s10, s7
	s_cbranch_execz .LBB0_622
.LBB0_980:                              ;   in Loop: Header=BB0_44 Depth=1
	s_and_saveexec_b32 s11, s19
	s_xor_b32 s11, exec_lo, s11
	s_cbranch_execz .LBB0_995
; %bb.981:                              ;   in Loop: Header=BB0_44 Depth=1
	s_and_saveexec_b32 s12, s8
	s_cbranch_execz .LBB0_994
; %bb.982:                              ;   in Loop: Header=BB0_44 Depth=1
	s_mov_b32 s23, exec_lo
	s_mov_b32 s22, exec_lo
	v_mbcnt_lo_u32_b32 v17, s23, 0
	s_waitcnt vmcnt(0) lgkmcnt(0)
	s_waitcnt_vscnt null, 0x0
	buffer_gl1_inv
	buffer_gl0_inv
	v_cmpx_eq_u32_e32 0, v17
	s_cbranch_execz .LBB0_984
; %bb.983:                              ;   in Loop: Header=BB0_44 Depth=1
	s_bcnt1_i32_b32 s23, s23
	v_mov_b32_e32 v54, s23
	ds_add_u64 v0, v[54:55]
	s_trap 2
.LBB0_984:                              ;   in Loop: Header=BB0_44 Depth=1
	s_or_b32 exec_lo, exec_lo, s22
	s_trap 2
	ds_read_b64 v[17:18], v0
	s_waitcnt lgkmcnt(0)
	buffer_gl0_inv
	v_add_co_u32 v2, vcc_lo, v2, v102
	v_add_co_ci_u32_e64 v3, null, 0, v3, vcc_lo
	s_mov_b32 s22, exec_lo
	v_cmpx_lt_u64_e64 v[17:18], v[2:3]
	s_cbranch_execz .LBB0_993
; %bb.985:                              ;   in Loop: Header=BB0_44 Depth=1
	s_mov_b32 s23, 0
	s_mov_b32 s26, 0
                                        ; implicit-def: $sgpr24
                                        ; implicit-def: $sgpr25
	s_inst_prefetch 0x1
	s_branch .LBB0_987
	.p2align	6
.LBB0_986:                              ;   in Loop: Header=BB0_987 Depth=2
	s_or_b32 exec_lo, exec_lo, s28
	s_and_b32 s27, exec_lo, s29
	s_or_b32 s23, s27, s23
	s_andn2_b32 s24, s24, exec_lo
	s_and_b32 s27, s25, exec_lo
	s_or_b32 s24, s24, s27
	s_andn2_b32 exec_lo, exec_lo, s23
	s_cbranch_execz .LBB0_991
.LBB0_987:                              ;   Parent Loop BB0_44 Depth=1
                                        ; =>  This Inner Loop Header: Depth=2
	s_add_i32 s26, s26, 1
	s_cmpk_lg_i32 s26, 0x2710
	s_cselect_b32 s27, -1, 0
	s_and_b32 vcc_lo, exec_lo, s27
	s_cbranch_vccz .LBB0_989
; %bb.988:                              ;   in Loop: Header=BB0_987 Depth=2
	s_mov_b32 s29, -1
	s_or_b32 s25, s25, exec_lo
	s_and_saveexec_b32 s28, s27
	s_cbranch_execz .LBB0_986
	s_branch .LBB0_990
	.p2align	6
.LBB0_989:                              ;   in Loop: Header=BB0_987 Depth=2
	s_trap 2
	ds_read_b64 v[17:18], v0
	s_andn2_b32 s27, s27, exec_lo
	s_mov_b32 s26, 0
	s_waitcnt lgkmcnt(0)
	flat_load_dword v17, v[17:18] glc dlc
	s_waitcnt vmcnt(0) lgkmcnt(0)
	buffer_gl1_inv
	buffer_gl0_inv
	v_cmp_eq_u32_e32 vcc_lo, 0, v17
	s_and_b32 s28, vcc_lo, exec_lo
	s_or_b32 s27, s27, s28
	s_mov_b32 s29, -1
	s_or_b32 s25, s25, exec_lo
	s_and_saveexec_b32 s28, s27
	s_cbranch_execz .LBB0_986
.LBB0_990:                              ;   in Loop: Header=BB0_987 Depth=2
	s_sleep 1
	s_trap 2
	ds_read_b64 v[17:18], v0
	s_waitcnt lgkmcnt(0)
	buffer_gl0_inv
	s_andn2_b32 s25, s25, exec_lo
	v_cmp_ge_u64_e32 vcc_lo, v[17:18], v[2:3]
	s_orn2_b32 s29, vcc_lo, exec_lo
	s_branch .LBB0_986
.LBB0_991:                              ;   in Loop: Header=BB0_44 Depth=1
	s_inst_prefetch 0x2
	s_or_b32 exec_lo, exec_lo, s23
	s_and_saveexec_b32 s23, s24
	s_xor_b32 s23, exec_lo, s23
	s_cbranch_execz .LBB0_993
; %bb.992:                              ;   in Loop: Header=BB0_44 Depth=1
	ds_write_b32 v0, v119
	s_trap 2
.LBB0_993:                              ;   in Loop: Header=BB0_44 Depth=1
	s_or_b32 exec_lo, exec_lo, s22
	;;#ASMSTART
	s_wakeup
	;;#ASMEND
.LBB0_994:                              ;   in Loop: Header=BB0_44 Depth=1
	s_or_b32 exec_lo, exec_lo, s12
.LBB0_995:                              ;   in Loop: Header=BB0_44 Depth=1
	s_andn2_saveexec_b32 s11, s11
	s_cbranch_execz .LBB0_997
; %bb.996:                              ;   in Loop: Header=BB0_44 Depth=1
	s_waitcnt vmcnt(0) lgkmcnt(0)
	s_waitcnt_vscnt null, 0x0
	buffer_gl1_inv
	buffer_gl0_inv
	s_barrier
.LBB0_997:                              ;   in Loop: Header=BB0_44 Depth=1
	s_or_b32 exec_lo, exec_lo, s11
	s_or_b32 exec_lo, exec_lo, s10
	s_and_saveexec_b32 s10, s9
	s_cbranch_execz .LBB0_43
.LBB0_998:                              ;   in Loop: Header=BB0_44 Depth=1
	v_add_co_u32 v38, vcc_lo, v38, 1
	v_add_co_ci_u32_e64 v39, null, 0, v39, vcc_lo
	s_waitcnt vmcnt(0) lgkmcnt(0)
	s_waitcnt_vscnt null, 0x0
	flat_store_dwordx2 v[48:49], v[38:39]
	s_branch .LBB0_43
.LBB0_999:
	s_or_b32 exec_lo, exec_lo, s20
	s_or_b32 exec_lo, exec_lo, s17
	s_and_saveexec_b32 s5, s16
	s_cbranch_execz .LBB0_28
.LBB0_1000:
	s_waitcnt vmcnt(0) lgkmcnt(0)
	flat_store_dwordx2 v[29:30], v[38:39] offset:104
	s_or_b32 exec_lo, exec_lo, s5
	s_and_saveexec_b32 s5, s4
	s_cbranch_execnz .LBB0_29
	s_branch .LBB0_30
.LBB0_1001:
	s_inst_prefetch 0x2
	s_or_b32 exec_lo, exec_lo, s8
	s_and_saveexec_b32 s8, s9
	s_xor_b32 s8, exec_lo, s8
	s_cbranch_execz .LBB0_1003
; %bb.1002:
	v_mov_b32_e32 v0, 1
	ds_write_b32 v0, v0
	s_trap 2
.LBB0_1003:
	s_or_b32 exec_lo, exec_lo, s7
	;;#ASMSTART
	s_wakeup
	;;#ASMEND
.LBB0_1004:
	s_or_b32 exec_lo, exec_lo, s6
.LBB0_1005:
	s_andn2_saveexec_b32 s5, s5
	s_cbranch_execz .LBB0_1007
; %bb.1006:
	s_waitcnt lgkmcnt(0)
	s_waitcnt_vscnt null, 0x0
	buffer_gl1_inv
	buffer_gl0_inv
	s_barrier
.LBB0_1007:
	s_or_b32 exec_lo, exec_lo, s4
	s_clause 0x19
	buffer_load_dword v89, off, s[0:3], s32
	buffer_load_dword v88, off, s[0:3], s32 offset:4
	buffer_load_dword v79, off, s[0:3], s32 offset:8
	buffer_load_dword v78, off, s[0:3], s32 offset:12
	buffer_load_dword v77, off, s[0:3], s32 offset:16
	buffer_load_dword v76, off, s[0:3], s32 offset:20
	buffer_load_dword v75, off, s[0:3], s32 offset:24
	buffer_load_dword v74, off, s[0:3], s32 offset:28
	buffer_load_dword v73, off, s[0:3], s32 offset:32
	buffer_load_dword v72, off, s[0:3], s32 offset:36
	buffer_load_dword v63, off, s[0:3], s32 offset:40
	buffer_load_dword v62, off, s[0:3], s32 offset:44
	buffer_load_dword v61, off, s[0:3], s32 offset:48
	buffer_load_dword v60, off, s[0:3], s32 offset:52
	buffer_load_dword v59, off, s[0:3], s32 offset:56
	buffer_load_dword v58, off, s[0:3], s32 offset:60
	buffer_load_dword v57, off, s[0:3], s32 offset:64
	buffer_load_dword v56, off, s[0:3], s32 offset:68
	buffer_load_dword v47, off, s[0:3], s32 offset:72
	buffer_load_dword v46, off, s[0:3], s32 offset:76
	buffer_load_dword v45, off, s[0:3], s32 offset:80
	buffer_load_dword v44, off, s[0:3], s32 offset:84
	buffer_load_dword v43, off, s[0:3], s32 offset:88
	buffer_load_dword v42, off, s[0:3], s32 offset:92
	buffer_load_dword v41, off, s[0:3], s32 offset:96
	buffer_load_dword v40, off, s[0:3], s32 offset:100
	s_waitcnt vmcnt(0) lgkmcnt(0)
	s_setpc_b64 s[30:31]
.Lfunc_end0:
	.size	_ZN12_GLOBAL__N_17runRingI11rccl_float813FuncPreMulSumIS1_E7ProtoLLLi0ELi1ELi0EEEviiP15ncclDevWorkColl, .Lfunc_end0-_ZN12_GLOBAL__N_17runRingI11rccl_float813FuncPreMulSumIS1_E7ProtoLLLi0ELi1ELi0EEEviiP15ncclDevWorkColl
                                        ; -- End function
	.set .L_ZN12_GLOBAL__N_17runRingI11rccl_float813FuncPreMulSumIS1_E7ProtoLLLi0ELi1ELi0EEEviiP15ncclDevWorkColl.num_vgpr, 120
	.set .L_ZN12_GLOBAL__N_17runRingI11rccl_float813FuncPreMulSumIS1_E7ProtoLLLi0ELi1ELi0EEEviiP15ncclDevWorkColl.num_agpr, 0
	.set .L_ZN12_GLOBAL__N_17runRingI11rccl_float813FuncPreMulSumIS1_E7ProtoLLLi0ELi1ELi0EEEviiP15ncclDevWorkColl.numbered_sgpr, 44
	.set .L_ZN12_GLOBAL__N_17runRingI11rccl_float813FuncPreMulSumIS1_E7ProtoLLLi0ELi1ELi0EEEviiP15ncclDevWorkColl.num_named_barrier, 0
	.set .L_ZN12_GLOBAL__N_17runRingI11rccl_float813FuncPreMulSumIS1_E7ProtoLLLi0ELi1ELi0EEEviiP15ncclDevWorkColl.private_seg_size, 108
	.set .L_ZN12_GLOBAL__N_17runRingI11rccl_float813FuncPreMulSumIS1_E7ProtoLLLi0ELi1ELi0EEEviiP15ncclDevWorkColl.uses_vcc, 1
	.set .L_ZN12_GLOBAL__N_17runRingI11rccl_float813FuncPreMulSumIS1_E7ProtoLLLi0ELi1ELi0EEEviiP15ncclDevWorkColl.uses_flat_scratch, 1
	.set .L_ZN12_GLOBAL__N_17runRingI11rccl_float813FuncPreMulSumIS1_E7ProtoLLLi0ELi1ELi0EEEviiP15ncclDevWorkColl.has_dyn_sized_stack, 0
	.set .L_ZN12_GLOBAL__N_17runRingI11rccl_float813FuncPreMulSumIS1_E7ProtoLLLi0ELi1ELi0EEEviiP15ncclDevWorkColl.has_recursion, 0
	.set .L_ZN12_GLOBAL__N_17runRingI11rccl_float813FuncPreMulSumIS1_E7ProtoLLLi0ELi1ELi0EEEviiP15ncclDevWorkColl.has_indirect_call, 0
	.section	.AMDGPU.csdata,"",@progbits
; Function info:
; codeLenInByte = 36608
; TotalNumSgprs: 46
; NumVgprs: 120
; ScratchSize: 108
; MemoryBound: 0
	.text
	.p2align	2                               ; -- Begin function _Z56ncclDevFunc_ReduceScatter_RING_LL_PreMulSum_f8e4m3_0_0_1v
	.type	_Z56ncclDevFunc_ReduceScatter_RING_LL_PreMulSum_f8e4m3_0_0_1v,@function
_Z56ncclDevFunc_ReduceScatter_RING_LL_PreMulSum_f8e4m3_0_0_1v: ; @_Z56ncclDevFunc_ReduceScatter_RING_LL_PreMulSum_f8e4m3_0_0_1v
; %bb.0:
	s_waitcnt vmcnt(0) expcnt(0) lgkmcnt(0)
	s_mov_b32 s57, s33
	s_mov_b32 s33, s32
	s_or_saveexec_b32 s4, -1
	buffer_store_dword v42, off, s[0:3], s33 offset:8 ; 4-byte Folded Spill
	s_mov_b32 exec_lo, s4
	s_addk_i32 s32, 0x200
	buffer_store_dword v40, off, s[0:3], s33 offset:4 ; 4-byte Folded Spill
	buffer_store_dword v41, off, s[0:3], s33 ; 4-byte Folded Spill
	v_writelane_b32 v42, s30, 0
	v_writelane_b32 v42, s31, 1
	s_trap 2
	ds_read_b32 v0, v0
	v_and_b32_e32 v40, 0x3ff, v31
	s_mov_b32 s46, s12
	s_mov_b64 s[44:45], s[8:9]
	s_mov_b32 s4, exec_lo
	s_waitcnt lgkmcnt(0)
	v_cmpx_lt_i32_e64 v40, v0
	s_cbranch_execz .LBB1_5
; %bb.1:
	s_load_dword s5, s[44:45], 0x0
	v_mov_b32_e32 v1, 0
	v_mov_b32_e32 v3, v40
                                        ; implicit-def: $vgpr4
	s_waitcnt lgkmcnt(0)
	s_cmp_lt_u32 s46, s5
	s_cselect_b32 s5, 12, 18
	s_add_u32 s6, s44, s5
	s_addc_u32 s7, s45, 0
	s_mov_b32 s5, 0
	global_load_ushort v1, v1, s[6:7]
	s_trap 2
	ds_read_b32 v2, v0
	s_mov_b32 s6, 0
	s_waitcnt vmcnt(0) lgkmcnt(0)
	v_mul_lo_u32 v2, v2, v1
	s_branch .LBB1_3
	.p2align	6
.LBB1_2:                                ;   in Loop: Header=BB1_3 Depth=1
	s_or_b32 exec_lo, exec_lo, s7
	v_add_nc_u32_e32 v3, v3, v1
	v_add_nc_u32_e32 v4, v4, v2
	v_cmp_ge_i32_e32 vcc_lo, v3, v0
	s_or_b32 s6, vcc_lo, s6
	s_andn2_b32 exec_lo, exec_lo, s6
	s_cbranch_execz .LBB1_5
.LBB1_3:                                ; =>This Inner Loop Header: Depth=1
	ds_read_b32 v5, v4
	s_mov_b32 s7, exec_lo
	s_waitcnt lgkmcnt(0)
	v_and_b32_e32 v5, 0x1000000, v5
	v_cmpx_ne_u32_e32 0, v5
	s_cbranch_execz .LBB1_2
; %bb.4:                                ;   in Loop: Header=BB1_3 Depth=1
	ds_read_b64 v[5:6], v4 offset:104
	s_waitcnt lgkmcnt(0)
	flat_load_ubyte v5, v[5:6]
	v_mov_b32_e32 v6, s5
	s_waitcnt vmcnt(0) lgkmcnt(0)
	v_and_b32_e32 v5, 0xffff, v5
	ds_write_b64 v4, v[5:6] offset:104
	s_branch .LBB1_2
.LBB1_5:
	s_or_b32 exec_lo, exec_lo, s4
	s_waitcnt lgkmcnt(0)
	s_waitcnt_vscnt null, 0x0
	s_barrier
	buffer_gl0_inv
	s_trap 2
	ds_read_b32 v0, v0
	s_waitcnt lgkmcnt(0)
	v_cmp_gt_i32_e32 vcc_lo, 1, v0
	s_cbranch_vccnz .LBB1_13
; %bb.6:
	v_mov_b32_e32 v41, 5
	s_mov_b32 s47, 0
	s_inst_prefetch 0x1
	s_branch .LBB1_8
	.p2align	6
.LBB1_7:                                ;   in Loop: Header=BB1_8 Depth=1
	s_or_b32 exec_lo, exec_lo, s56
	s_trap 2
	ds_read_b32 v0, v0
	s_add_i32 s47, s47, 1
	s_waitcnt lgkmcnt(0)
	v_cmp_lt_i32_e32 vcc_lo, s47, v0
	s_cbranch_vccz .LBB1_13
.LBB1_8:                                ; =>This Inner Loop Header: Depth=1
	s_trap 2
	ds_read_b32 v0, v0
	s_cmp_eq_u32 s47, 0
	s_cbranch_scc1 .LBB1_11
; %bb.9:                                ;   in Loop: Header=BB1_8 Depth=1
	s_trap 2
	s_waitcnt lgkmcnt(0)
	ds_read_b32 v1, v0
	s_waitcnt lgkmcnt(0)
	v_xor_b32_e32 v1, v1, v0
	v_and_b32_e32 v1, 0xff0000, v1
	v_cmp_eq_u32_e32 vcc_lo, 0, v1
	s_cbranch_vccnz .LBB1_11
; %bb.10:                               ;   in Loop: Header=BB1_8 Depth=1
	s_barrier
	buffer_gl0_inv
	ds_read_b32 v0, v0
.LBB1_11:                               ;   in Loop: Header=BB1_8 Depth=1
	s_waitcnt lgkmcnt(0)
	v_lshlrev_b32_sdwa v1, v41, v0 dst_sel:DWORD dst_unused:UNUSED_PAD src0_sel:DWORD src1_sel:BYTE_2
	s_mov_b32 s56, exec_lo
	v_cmpx_lt_u32_e64 v40, v1
	s_cbranch_execz .LBB1_7
; %bb.12:                               ;   in Loop: Header=BB1_8 Depth=1
	s_mov_b64 s[4:5], src_shared_base
	v_mov_b32_e32 v0, v40
	v_mov_b32_e32 v3, s5
	s_getpc_b64 s[6:7]
	s_add_u32 s6, s6, _ZN12_GLOBAL__N_17runRingI11rccl_float813FuncPreMulSumIS1_E7ProtoLLLi0ELi1ELi0EEEviiP15ncclDevWorkColl@rel32@lo+4
	s_addc_u32 s7, s7, _ZN12_GLOBAL__N_17runRingI11rccl_float813FuncPreMulSumIS1_E7ProtoLLLi0ELi1ELi0EEEviiP15ncclDevWorkColl@rel32@hi+12
	s_mov_b64 s[8:9], s[44:45]
	s_mov_b32 s12, s46
	s_swappc_b64 s[30:31], s[6:7]
	s_branch .LBB1_7
.LBB1_13:
	s_inst_prefetch 0x2
	s_clause 0x1
	buffer_load_dword v41, off, s[0:3], s33
	buffer_load_dword v40, off, s[0:3], s33 offset:4
	v_readlane_b32 s30, v42, 0
	v_readlane_b32 s31, v42, 1
	s_mov_b32 s32, s33
	s_or_saveexec_b32 s4, -1
	buffer_load_dword v42, off, s[0:3], s33 offset:8 ; 4-byte Folded Reload
	s_mov_b32 exec_lo, s4
	s_mov_b32 s33, s57
	s_waitcnt vmcnt(0)
	s_setpc_b64 s[30:31]
.Lfunc_end1:
	.size	_Z56ncclDevFunc_ReduceScatter_RING_LL_PreMulSum_f8e4m3_0_0_1v, .Lfunc_end1-_Z56ncclDevFunc_ReduceScatter_RING_LL_PreMulSum_f8e4m3_0_0_1v
                                        ; -- End function
	.set .L_Z56ncclDevFunc_ReduceScatter_RING_LL_PreMulSum_f8e4m3_0_0_1v.num_vgpr, max(43, .L_ZN12_GLOBAL__N_17runRingI11rccl_float813FuncPreMulSumIS1_E7ProtoLLLi0ELi1ELi0EEEviiP15ncclDevWorkColl.num_vgpr)
	.set .L_Z56ncclDevFunc_ReduceScatter_RING_LL_PreMulSum_f8e4m3_0_0_1v.num_agpr, max(0, .L_ZN12_GLOBAL__N_17runRingI11rccl_float813FuncPreMulSumIS1_E7ProtoLLLi0ELi1ELi0EEEviiP15ncclDevWorkColl.num_agpr)
	.set .L_Z56ncclDevFunc_ReduceScatter_RING_LL_PreMulSum_f8e4m3_0_0_1v.numbered_sgpr, max(58, .L_ZN12_GLOBAL__N_17runRingI11rccl_float813FuncPreMulSumIS1_E7ProtoLLLi0ELi1ELi0EEEviiP15ncclDevWorkColl.numbered_sgpr)
	.set .L_Z56ncclDevFunc_ReduceScatter_RING_LL_PreMulSum_f8e4m3_0_0_1v.num_named_barrier, max(0, .L_ZN12_GLOBAL__N_17runRingI11rccl_float813FuncPreMulSumIS1_E7ProtoLLLi0ELi1ELi0EEEviiP15ncclDevWorkColl.num_named_barrier)
	.set .L_Z56ncclDevFunc_ReduceScatter_RING_LL_PreMulSum_f8e4m3_0_0_1v.private_seg_size, 16+max(.L_ZN12_GLOBAL__N_17runRingI11rccl_float813FuncPreMulSumIS1_E7ProtoLLLi0ELi1ELi0EEEviiP15ncclDevWorkColl.private_seg_size)
	.set .L_Z56ncclDevFunc_ReduceScatter_RING_LL_PreMulSum_f8e4m3_0_0_1v.uses_vcc, or(1, .L_ZN12_GLOBAL__N_17runRingI11rccl_float813FuncPreMulSumIS1_E7ProtoLLLi0ELi1ELi0EEEviiP15ncclDevWorkColl.uses_vcc)
	.set .L_Z56ncclDevFunc_ReduceScatter_RING_LL_PreMulSum_f8e4m3_0_0_1v.uses_flat_scratch, or(0, .L_ZN12_GLOBAL__N_17runRingI11rccl_float813FuncPreMulSumIS1_E7ProtoLLLi0ELi1ELi0EEEviiP15ncclDevWorkColl.uses_flat_scratch)
	.set .L_Z56ncclDevFunc_ReduceScatter_RING_LL_PreMulSum_f8e4m3_0_0_1v.has_dyn_sized_stack, or(0, .L_ZN12_GLOBAL__N_17runRingI11rccl_float813FuncPreMulSumIS1_E7ProtoLLLi0ELi1ELi0EEEviiP15ncclDevWorkColl.has_dyn_sized_stack)
	.set .L_Z56ncclDevFunc_ReduceScatter_RING_LL_PreMulSum_f8e4m3_0_0_1v.has_recursion, or(1, .L_ZN12_GLOBAL__N_17runRingI11rccl_float813FuncPreMulSumIS1_E7ProtoLLLi0ELi1ELi0EEEviiP15ncclDevWorkColl.has_recursion)
	.set .L_Z56ncclDevFunc_ReduceScatter_RING_LL_PreMulSum_f8e4m3_0_0_1v.has_indirect_call, or(0, .L_ZN12_GLOBAL__N_17runRingI11rccl_float813FuncPreMulSumIS1_E7ProtoLLLi0ELi1ELi0EEEviiP15ncclDevWorkColl.has_indirect_call)
	.section	.AMDGPU.csdata,"",@progbits
; Function info:
; codeLenInByte = 644
; TotalNumSgprs: 60
; NumVgprs: 120
; ScratchSize: 124
; MemoryBound: 0
	.text
	.p2align	2                               ; -- Begin function _ZN12_GLOBAL__N_17runRingI11rccl_float813FuncPreMulSumIS1_E7ProtoLLLi0ELi2ELi0EEEviiP15ncclDevWorkColl
	.type	_ZN12_GLOBAL__N_17runRingI11rccl_float813FuncPreMulSumIS1_E7ProtoLLLi0ELi2ELi0EEEviiP15ncclDevWorkColl,@function
_ZN12_GLOBAL__N_17runRingI11rccl_float813FuncPreMulSumIS1_E7ProtoLLLi0ELi2ELi0EEEviiP15ncclDevWorkColl: ; @_ZN12_GLOBAL__N_17runRingI11rccl_float813FuncPreMulSumIS1_E7ProtoLLLi0ELi2ELi0EEEviiP15ncclDevWorkColl
; %bb.0:
	s_waitcnt vmcnt(0) expcnt(0) lgkmcnt(0)
	buffer_store_dword v40, off, s[0:3], s32 offset:100 ; 4-byte Folded Spill
	buffer_store_dword v41, off, s[0:3], s32 offset:96 ; 4-byte Folded Spill
	;; [unrolled: 1-line block ×25, first 2 shown]
	buffer_store_dword v89, off, s[0:3], s32 ; 4-byte Folded Spill
	s_trap 2
	s_clause 0x2
	flat_load_dword v10, v[2:3]
	flat_load_dwordx4 v[5:8], v[2:3] offset:72
	flat_load_dwordx2 v[17:18], v[2:3] offset:88
	v_mov_b32_e32 v4, v0
                                        ; implicit-def: $vgpr25_vgpr26
	s_waitcnt vmcnt(2) lgkmcnt(2)
	v_not_b32_sdwa v0, v10 dst_sel:DWORD dst_unused:UNUSED_PAD src0_sel:BYTE_0
	ds_read_b32 v9, v0
	ds_read_b64 v[23:24], v0
	v_add_nc_u32_sdwa v11, v10, v0 dst_sel:DWORD dst_unused:UNUSED_PAD src0_sel:BYTE_1 src1_sel:DWORD
	v_ashrrev_i32_e32 v12, 31, v11
	s_waitcnt vmcnt(1) lgkmcnt(3)
	v_mul_lo_u32 v13, v8, v11
	v_mad_u64_u32 v[19:20], null, v7, v11, 0
	v_mul_lo_u32 v11, v7, v12
	v_add3_u32 v54, v20, v11, v13
	s_waitcnt lgkmcnt(1)
	v_readfirstlane_b32 s14, v9
	v_cmp_ne_u32_sdwa s4, v9, v10 src0_sel:DWORD src1_sel:BYTE_0
                                        ; implicit-def: $vgpr20_vgpr21
	s_and_saveexec_b32 s5, s4
	s_xor_b32 s4, exec_lo, s5
	s_cbranch_execz .LBB2_6
; %bb.1:
	v_cmp_ne_u32_sdwa s5, v9, v10 src0_sel:DWORD src1_sel:BYTE_1
                                        ; implicit-def: $vgpr20_vgpr21
                                        ; implicit-def: $vgpr25_vgpr26
	s_and_saveexec_b32 s6, s5
	s_xor_b32 s5, exec_lo, s6
	s_cbranch_execz .LBB2_3
; %bb.2:
	flat_load_dwordx2 v[10:11], v[2:3] offset:96
	v_add_nc_u32_e32 v0, v9, v0
	v_ashrrev_i32_e32 v9, 31, v0
	v_mul_lo_u32 v12, v8, v0
	v_mad_u64_u32 v[25:26], null, v7, v0, v[5:6]
	v_mul_lo_u32 v9, v7, v9
	v_add3_u32 v26, v12, v26, v9
	s_waitcnt vmcnt(0) lgkmcnt(0)
	v_lshrrev_b64 v[20:21], 17, v[10:11]
.LBB2_3:
	s_andn2_saveexec_b32 s5, s5
	s_cbranch_execz .LBB2_5
; %bb.4:
	flat_load_dword v0, v[2:3] offset:100
	v_add_co_u32 v25, vcc_lo, v19, v5
	s_waitcnt vmcnt(1)
	v_mov_b32_e32 v7, v17
	v_add_co_ci_u32_e64 v26, null, v54, v6, vcc_lo
	v_mov_b32_e32 v8, v18
	s_waitcnt vmcnt(0) lgkmcnt(0)
	v_lshrrev_b32_e32 v20, 6, v0
.LBB2_5:
	s_or_b32 exec_lo, exec_lo, s5
.LBB2_6:
	s_andn2_saveexec_b32 s4, s4
	s_cbranch_execz .LBB2_8
; %bb.7:
	flat_load_dwordx2 v[7:8], v[2:3] offset:96
	v_mov_b32_e32 v25, 0
	v_mov_b32_e32 v26, 0
	s_waitcnt vmcnt(0) lgkmcnt(0)
	v_lshlrev_b64 v[20:21], 4, v[7:8]
	v_mov_b32_e32 v8, v6
	v_mov_b32_e32 v7, v5
.LBB2_8:
	s_or_b32 exec_lo, exec_lo, s4
	s_clause 0x3
	flat_load_dwordx2 v[15:16], v[2:3] offset:104
	flat_load_dwordx4 v[9:12], v[2:3] offset:16
	flat_load_ushort v14, v[2:3] offset:8
	flat_load_dword v13, v[2:3] offset:4
	v_mov_b32_e32 v0, 0x7f
	s_mov_b32 s4, 0
	s_waitcnt vmcnt(3) lgkmcnt(3)
	v_cmp_gt_i16_sdwa s5, v15, v0 src0_sel:BYTE_0 src1_sel:DWORD
	s_and_saveexec_b32 s6, s5
	s_xor_b32 s5, exec_lo, s6
	s_cbranch_execnz .LBB2_14
; %bb.9:
	s_or_saveexec_b32 s5, s5
	v_mov_b32_e32 v0, 0x7f800001
	s_xor_b32 exec_lo, exec_lo, s5
	s_cbranch_execnz .LBB2_17
.LBB2_10:
	s_or_b32 exec_lo, exec_lo, s5
	s_and_saveexec_b32 s5, s4
	s_cbranch_execz .LBB2_12
.LBB2_11:
	v_and_b32_e32 v0, 7, v15
	v_bfe_u32 v16, v15, 3, 4
	v_ffbh_u32_e32 v2, v0
	v_cmp_eq_u32_e32 vcc_lo, 0, v16
	v_min_u32_e32 v2, 32, v2
	v_subrev_nc_u32_e32 v3, 28, v2
	v_sub_nc_u32_e32 v2, 29, v2
	v_lshlrev_b32_e32 v3, v3, v15
	v_lshlrev_b32_e32 v15, 24, v15
	v_cndmask_b32_e32 v2, v16, v2, vcc_lo
	v_and_b32_e32 v3, 7, v3
	v_lshl_add_u32 v2, v2, 23, 0x3b800000
	v_cndmask_b32_e32 v0, v0, v3, vcc_lo
	v_and_b32_e32 v3, 0x80000000, v15
	v_lshlrev_b32_e32 v0, 20, v0
	v_or3_b32 v0, v3, v2, v0
.LBB2_12:
	s_or_b32 exec_lo, exec_lo, s5
	s_load_dword s4, s[8:9], 0x0
	v_mov_b32_e32 v3, 0
	s_waitcnt vmcnt(0) lgkmcnt(0)
	v_lshrrev_b64 v[13:14], 31, v[13:14]
	v_and_b32_e32 v38, 31, v4
	v_mov_b32_e32 v27, 0
	v_mov_b32_e32 v28, 0
	s_mov_b32 s6, 0
	v_and_b32_e32 v13, 3, v13
	v_and_b32_e32 v15, 0xffff, v13
	s_cmp_lt_u32 s12, s4
	s_cselect_b32 s4, 12, 18
	s_add_u32 s4, s8, s4
	s_addc_u32 s5, s9, 0
	global_load_ushort v98, v3, s[4:5]
	s_trap 2
	ds_read_b32 v2, v0
	v_cmp_eq_u32_e64 s4, 0, v38
	s_waitcnt lgkmcnt(0)
	v_cmp_gt_i32_e32 vcc_lo, 0, v2
	v_readfirstlane_b32 s5, v2
	s_cbranch_vccnz .LBB2_18
; %bb.13:
	s_trap 2
	ds_read_b64 v[13:14], v0
	v_lshlrev_b64 v[2:3], 3, v[2:3]
	s_mov_b32 s6, 1
	s_waitcnt lgkmcnt(0)
	v_add_co_u32 v2, vcc_lo, v13, v2
	v_add_co_ci_u32_e64 v3, null, v14, v3, vcc_lo
	flat_load_dwordx2 v[2:3], v[2:3]
	s_waitcnt vmcnt(0) lgkmcnt(0)
	v_mad_u64_u32 v[2:3], null, 0xa8, v15, v[2:3]
	s_clause 0x1
	flat_load_dwordx2 v[32:33], v[2:3] offset:504
	flat_load_dwordx2 v[34:35], v[2:3] offset:608
	v_add_co_u32 v29, vcc_lo, 0x1f8, v2
	v_add_co_ci_u32_e64 v30, null, 0, v3, vcc_lo
	v_cndmask_b32_e64 v2, 0, v29, s4
	v_cndmask_b32_e64 v3, 0, v30, s4
	s_branch .LBB2_19
.LBB2_14:
	v_mov_b32_e32 v0, 0x80
	s_mov_b32 s4, -1
	v_cmp_eq_u16_sdwa s7, v15, v0 src0_sel:BYTE_0 src1_sel:DWORD
	s_and_saveexec_b32 s6, s7
; %bb.15:
	s_xor_b32 s4, exec_lo, -1
; %bb.16:
	s_or_b32 exec_lo, exec_lo, s6
	s_and_b32 s4, s4, exec_lo
	s_or_saveexec_b32 s5, s5
	v_mov_b32_e32 v0, 0x7f800001
	s_xor_b32 exec_lo, exec_lo, s5
	s_cbranch_execz .LBB2_10
.LBB2_17:
	v_mov_b32_e32 v0, 0
	s_andn2_b32 s4, s4, exec_lo
	v_cmp_ne_u16_sdwa s6, v15, v0 src0_sel:BYTE_0 src1_sel:DWORD
	s_and_b32 s6, s6, exec_lo
	s_or_b32 s4, s4, s6
	s_or_b32 exec_lo, exec_lo, s5
	s_and_saveexec_b32 s5, s4
	s_cbranch_execnz .LBB2_11
	s_branch .LBB2_12
.LBB2_18:
	v_mov_b32_e32 v29, 0
	v_mov_b32_e32 v2, 0
	;; [unrolled: 1-line block ×4, first 2 shown]
                                        ; implicit-def: $vgpr34_vgpr35
                                        ; implicit-def: $vgpr32_vgpr33
.LBB2_19:
	s_trap 2
	ds_read_b32 v13, v0
	s_waitcnt lgkmcnt(0)
	v_cmp_gt_i32_e32 vcc_lo, 0, v13
	s_cbranch_vccnz .LBB2_21
; %bb.20:
	s_trap 2
	ds_read_b64 v[21:22], v0
	v_mov_b32_e32 v14, 0
	v_lshlrev_b64 v[13:14], 3, v[13:14]
	s_waitcnt lgkmcnt(0)
	v_add_co_u32 v13, vcc_lo, v21, v13
	v_add_co_ci_u32_e64 v14, null, v22, v14, vcc_lo
	v_cmp_eq_u32_e32 vcc_lo, 0, v38
	flat_load_dwordx2 v[13:14], v[13:14]
	s_waitcnt vmcnt(0) lgkmcnt(0)
	v_mad_u64_u32 v[27:28], null, 0xa8, v15, v[13:14]
	s_clause 0x1
	flat_load_dwordx2 v[36:37], v[27:28]
	flat_load_dwordx2 v[21:22], v[27:28] offset:104
	v_cndmask_b32_e32 v16, 0, v28, vcc_lo
	v_cndmask_b32_e32 v15, 0, v27, vcc_lo
	s_branch .LBB2_22
.LBB2_21:
	v_mov_b32_e32 v15, 0
	v_mov_b32_e32 v16, 0
                                        ; implicit-def: $vgpr21_vgpr22
                                        ; implicit-def: $vgpr36_vgpr37
.LBB2_22:
	v_subrev_nc_u32_e32 v13, 32, v1
	v_cmp_gt_u32_e32 vcc_lo, s6, v38
	v_mov_b32_e32 v48, 0
	v_mov_b32_e32 v49, 0
                                        ; implicit-def: $vgpr38_vgpr39
	v_cmp_ge_i32_e64 s4, v4, v13
	v_mov_b32_e32 v13, 0
	v_mov_b32_e32 v14, 0
	s_and_b32 s16, s4, vcc_lo
	s_and_saveexec_b32 s4, s16
	s_cbranch_execz .LBB2_24
; %bb.23:
	s_clause 0x1
	flat_load_dwordx2 v[48:49], v[2:3] offset:56
	flat_load_dwordx2 v[38:39], v[2:3] offset:104
.LBB2_24:
	s_or_b32 exec_lo, exec_lo, s4
	v_mov_b32_e32 v50, 0
	v_mov_b32_e32 v51, 0
	v_cmp_gt_u32_e64 s4, s6, v4
                                        ; implicit-def: $vgpr52_vgpr53
	s_and_saveexec_b32 s6, s4
	s_cbranch_execz .LBB2_26
; %bb.25:
	flat_load_dwordx2 v[50:51], v[15:16] offset:56
	s_waitcnt vmcnt(0) lgkmcnt(0)
	flat_load_dwordx2 v[52:53], v[50:51] glc dlc
	s_waitcnt vmcnt(0)
	flat_load_dwordx4 v[13:16], v[15:16] offset:96
.LBB2_26:
	s_or_b32 exec_lo, exec_lo, s6
	v_mov_b32_e32 v2, 0
	v_mov_b32_e32 v3, 0
	s_mov_b32 s17, exec_lo
	v_cmpx_ne_u64_e32 0, v[7:8]
	s_cbranch_execnz .LBB2_42
; %bb.27:
	s_or_b32 exec_lo, exec_lo, s17
	s_and_saveexec_b32 s5, s16
	s_cbranch_execnz .LBB2_1000
.LBB2_28:
	s_or_b32 exec_lo, exec_lo, s5
	s_and_saveexec_b32 s5, s4
	s_cbranch_execz .LBB2_30
.LBB2_29:
	s_waitcnt vmcnt(0) lgkmcnt(0)
	flat_store_dwordx2 v[27:28], v[15:16] offset:104
.LBB2_30:
	s_or_b32 exec_lo, exec_lo, s5
	s_mov_b32 s4, exec_lo
	v_cmpx_ne_u32_e32 32, v1
	s_cbranch_execz .LBB2_1007
; %bb.31:
	s_waitcnt vmcnt(0)
	v_cmp_ne_u32_sdwa s5, v1, v98 src0_sel:DWORD src1_sel:WORD_0
	s_and_saveexec_b32 s6, s5
	s_xor_b32 s5, exec_lo, s6
	s_cbranch_execz .LBB2_1005
; %bb.32:
	v_and_b32_e32 v0, 31, v31
	s_mov_b32 s6, exec_lo
	v_cmpx_eq_u32_e32 0, v0
	s_cbranch_execz .LBB2_1004
; %bb.33:
	s_mov_b32 s8, exec_lo
	s_mov_b32 s7, exec_lo
	v_mbcnt_lo_u32_b32 v0, s8, 0
	s_waitcnt lgkmcnt(0)
	s_waitcnt_vscnt null, 0x0
	buffer_gl1_inv
	buffer_gl0_inv
	v_cmpx_eq_u32_e32 0, v0
	s_cbranch_execz .LBB2_35
; %bb.34:
	s_bcnt1_i32_b32 s8, s8
	v_mov_b32_e32 v5, 0
	v_mov_b32_e32 v4, s8
	ds_add_u64 v0, v[4:5]
	s_trap 2
.LBB2_35:
	s_or_b32 exec_lo, exec_lo, s7
	s_trap 2
	ds_read_b64 v[4:5], v0
	s_waitcnt lgkmcnt(0)
	buffer_gl0_inv
	v_lshrrev_b32_e32 v0, 5, v1
	s_mov_b32 s7, exec_lo
	v_add_co_u32 v0, vcc_lo, v2, v0
	v_add_co_ci_u32_e64 v1, null, 0, v3, vcc_lo
	v_cmpx_lt_u64_e64 v[4:5], v[0:1]
	s_cbranch_execz .LBB2_1003
; %bb.36:
	s_mov_b32 s8, 0
	s_mov_b32 s11, 0
                                        ; implicit-def: $sgpr9
                                        ; implicit-def: $sgpr10
	s_inst_prefetch 0x1
	s_branch .LBB2_38
	.p2align	6
.LBB2_37:                               ;   in Loop: Header=BB2_38 Depth=1
	s_or_b32 exec_lo, exec_lo, s13
	s_and_b32 s12, exec_lo, s14
	s_or_b32 s8, s12, s8
	s_andn2_b32 s9, s9, exec_lo
	s_and_b32 s12, s10, exec_lo
	s_or_b32 s9, s9, s12
	s_andn2_b32 exec_lo, exec_lo, s8
	s_cbranch_execz .LBB2_1001
.LBB2_38:                               ; =>This Inner Loop Header: Depth=1
	s_add_i32 s11, s11, 1
	s_cmpk_lg_i32 s11, 0x2710
	s_cselect_b32 s12, -1, 0
	s_and_b32 vcc_lo, exec_lo, s12
	s_cbranch_vccz .LBB2_40
; %bb.39:                               ;   in Loop: Header=BB2_38 Depth=1
	s_mov_b32 s14, -1
	s_or_b32 s10, s10, exec_lo
	s_and_saveexec_b32 s13, s12
	s_cbranch_execz .LBB2_37
	s_branch .LBB2_41
	.p2align	6
.LBB2_40:                               ;   in Loop: Header=BB2_38 Depth=1
	s_trap 2
	ds_read_b64 v[2:3], v0
	s_andn2_b32 s12, s12, exec_lo
	s_mov_b32 s11, 0
	s_waitcnt lgkmcnt(0)
	flat_load_dword v2, v[2:3] glc dlc
	s_waitcnt vmcnt(0) lgkmcnt(0)
	buffer_gl1_inv
	buffer_gl0_inv
	v_cmp_eq_u32_e32 vcc_lo, 0, v2
	s_and_b32 s13, vcc_lo, exec_lo
	s_or_b32 s12, s12, s13
	s_mov_b32 s14, -1
	s_or_b32 s10, s10, exec_lo
	s_and_saveexec_b32 s13, s12
	s_cbranch_execz .LBB2_37
.LBB2_41:                               ;   in Loop: Header=BB2_38 Depth=1
	s_sleep 1
	s_trap 2
	ds_read_b64 v[2:3], v0
	s_waitcnt lgkmcnt(0)
	buffer_gl0_inv
	s_andn2_b32 s10, s10, exec_lo
	v_cmp_ge_u64_e32 vcc_lo, v[2:3], v[0:1]
	s_orn2_b32 s14, vcc_lo, exec_lo
	s_branch .LBB2_37
.LBB2_42:
	s_ashr_i32 s6, s5, 31
	s_ashr_i32 s15, s14, 31
	s_lshr_b32 s6, s6, 29
	v_add_co_u32 v2, vcc_lo, v17, v5
	s_add_i32 s5, s5, s6
	s_lshl_b64 s[6:7], s[14:15], 2
	v_add_co_ci_u32_e64 v3, null, v18, v6, vcc_lo
	v_add_co_u32 v5, vcc_lo, v23, s6
	v_add_co_ci_u32_e64 v6, null, s7, v24, vcc_lo
	v_lshlrev_b32_e32 v101, 3, v4
	v_mov_b32_e32 v55, 0
	v_add_co_u32 v99, vcc_lo, v2, v19
	v_add_co_ci_u32_e64 v100, null, v3, v54, vcc_lo
	v_add_co_u32 v66, vcc_lo, v5, -4
	v_and_b32_e32 v2, 31, v31
	v_add_co_ci_u32_e64 v67, null, -1, v6, vcc_lo
	v_add_co_u32 v112, vcc_lo, v11, v101
	v_mov_b32_e32 v5, v55
	s_ashr_i32 s8, s5, 3
	v_add_co_ci_u32_e64 v113, null, 0, v12, vcc_lo
	v_add_co_u32 v114, vcc_lo, v9, v101
	s_and_b32 s15, s8, -16
	v_cmp_eq_u32_e64 s8, 0, v2
	v_add_co_ci_u32_e64 v115, null, 0, v10, vcc_lo
	v_add_co_u32 v2, vcc_lo, v25, v11
	v_lshlrev_b64 v[9:10], 4, v[4:5]
	v_add_co_ci_u32_e64 v3, null, v26, v12, vcc_lo
	v_add_co_u32 v5, vcc_lo, v2, v101
	v_mov_b32_e32 v2, v55
	v_add_co_ci_u32_e64 v6, null, 0, v3, vcc_lo
	s_waitcnt vmcnt(1) lgkmcnt(1)
	v_add_co_u32 v117, vcc_lo, v36, v9
	s_ashr_i32 s18, s5, 7
	v_mov_b32_e32 v68, 0
	v_cmp_ne_u64_e64 s5, 0, v[50:51]
	s_waitcnt vmcnt(0) lgkmcnt(0)
	v_cmp_ne_u64_e64 s6, 0, v[13:14]
	v_cmp_ne_u64_e64 s9, 0, v[48:49]
	v_add_co_ci_u32_e64 v118, null, v37, v10, vcc_lo
	v_lshlrev_b64 v[9:10], 4, v[1:2]
	v_mov_b32_e32 v2, 0
	v_and_b32_e32 v64, 0x1fffff0, v20
	v_mov_b32_e32 v65, v55
	v_mov_b32_e32 v69, 0
	v_cmp_ne_u32_e64 s7, 32, v1
	v_cmp_ne_u32_sdwa s19, v1, v98 src0_sel:DWORD src1_sel:WORD_0
	v_lshrrev_b32_e32 v102, 5, v1
	v_lshlrev_b32_e32 v103, 3, v1
	v_lshlrev_b32_e32 v116, 6, v1
	v_mov_b32_e32 v119, 1
	v_mov_b32_e32 v40, 0x7f
	;; [unrolled: 1-line block ×8, first 2 shown]
	s_cmp_gt_i32 s14, 2
	s_mov_b32 s13, 0
	s_cselect_b32 s21, -1, 0
	s_mov_b32 s20, 0
	s_branch .LBB2_44
.LBB2_43:                               ;   in Loop: Header=BB2_44 Depth=1
	s_or_b32 exec_lo, exec_lo, s10
	v_add_co_u32 v68, vcc_lo, v68, v64
	v_add_co_ci_u32_e64 v69, null, 0, v69, vcc_lo
	v_add_co_u32 v34, vcc_lo, v34, 1
	v_add_co_ci_u32_e64 v35, null, 0, v35, vcc_lo
	v_cmp_ge_u64_e32 vcc_lo, v[68:69], v[7:8]
	v_add_co_u32 v5, s10, v5, v64
	v_add_co_ci_u32_e64 v6, null, 0, v6, s10
	s_or_b32 s20, vcc_lo, s20
	s_andn2_b32 exec_lo, exec_lo, s20
	s_cbranch_execz .LBB2_999
.LBB2_44:                               ; =>This Loop Header: Depth=1
                                        ;     Child Loop BB2_49 Depth 2
                                        ;     Child Loop BB2_68 Depth 2
                                        ;     Child Loop BB2_84 Depth 2
                                        ;     Child Loop BB2_217 Depth 2
                                        ;     Child Loop BB2_221 Depth 2
                                        ;       Child Loop BB2_226 Depth 3
                                        ;       Child Loop BB2_245 Depth 3
	;; [unrolled: 1-line block ×3, first 2 shown]
                                        ;         Child Loop BB2_275 Depth 4
                                        ;       Child Loop BB2_609 Depth 3
                                        ;       Child Loop BB2_262 Depth 3
                                        ;     Child Loop BB2_625 Depth 2
                                        ;       Child Loop BB2_633 Depth 3
                                        ;     Child Loop BB2_987 Depth 2
	s_waitcnt vmcnt(0) lgkmcnt(0)
	flat_load_dword v19, v[66:67]
	v_sub_co_u32 v17, vcc_lo, v7, v68
	v_sub_co_ci_u32_e64 v18, null, v8, v69, vcc_lo
	v_cmp_lt_u64_e32 vcc_lo, v[64:65], v[17:18]
	v_cndmask_b32_e32 v20, v17, v64, vcc_lo
	v_lshl_add_u32 v17, v20, 1, 14
	v_and_b32_e32 v47, 0x7fffff0, v17
	s_and_saveexec_b32 s11, s5
	s_cbranch_execz .LBB2_60
; %bb.45:                               ;   in Loop: Header=BB2_44 Depth=1
	v_add_co_u32 v17, vcc_lo, v15, 1
	v_add_co_ci_u32_e64 v18, null, 0, v16, vcc_lo
	v_add_co_u32 v70, vcc_lo, v52, 8
	v_add_co_ci_u32_e64 v71, null, 0, v53, vcc_lo
	s_mov_b32 s12, exec_lo
	v_cmpx_lt_u64_e64 v[70:71], v[17:18]
	s_cbranch_execz .LBB2_57
; %bb.46:                               ;   in Loop: Header=BB2_44 Depth=1
	s_mov_b32 s22, 0
	s_mov_b32 s26, 0
	v_cmp_eq_u32_e32 vcc_lo, 0, v45
                                        ; implicit-def: $sgpr23
                                        ; implicit-def: $sgpr24
                                        ; implicit-def: $sgpr25
	s_branch .LBB2_49
.LBB2_47:                               ;   in Loop: Header=BB2_49 Depth=2
	s_or_b32 exec_lo, exec_lo, s41
	s_andn2_b32 s10, s25, exec_lo
	s_and_b32 s25, s29, exec_lo
	s_andn2_b32 s24, s24, exec_lo
	s_and_b32 s28, s28, exec_lo
	s_or_b32 s25, s10, s25
	s_or_b32 s24, s24, s28
.LBB2_48:                               ;   in Loop: Header=BB2_49 Depth=2
	s_or_b32 exec_lo, exec_lo, s27
	s_and_b32 s10, exec_lo, s24
	s_or_b32 s22, s10, s22
	s_andn2_b32 s10, s23, exec_lo
	s_and_b32 s23, s25, exec_lo
	s_or_b32 s23, s10, s23
	s_andn2_b32 exec_lo, exec_lo, s22
	s_cbranch_execz .LBB2_54
.LBB2_49:                               ;   Parent Loop BB2_44 Depth=1
                                        ; =>  This Inner Loop Header: Depth=2
	s_sleep 1
	s_waitcnt vmcnt(0) lgkmcnt(0)
	flat_load_dwordx2 v[52:53], v[50:51] glc dlc
	v_mov_b32_e32 v45, 1
	s_or_b32 s25, s25, exec_lo
	s_or_b32 s24, s24, exec_lo
                                        ; implicit-def: $vgpr16
	s_and_saveexec_b32 s27, vcc_lo
	s_cbranch_execz .LBB2_48
; %bb.50:                               ;   in Loop: Header=BB2_49 Depth=2
	s_add_i32 s26, s26, 1
	s_mov_b32 s28, -1
	s_cmpk_lg_i32 s26, 0x2710
	s_mov_b32 s29, -1
	s_cselect_b32 s40, -1, 0
	s_cmpk_eq_i32 s26, 0x2710
                                        ; implicit-def: $vgpr16
	s_cbranch_scc1 .LBB2_52
; %bb.51:                               ;   in Loop: Header=BB2_49 Depth=2
	v_mov_b32_e32 v45, 1
	s_and_saveexec_b32 s41, s40
	s_cbranch_execz .LBB2_47
	s_branch .LBB2_53
.LBB2_52:                               ;   in Loop: Header=BB2_49 Depth=2
	s_trap 2
	ds_read_b64 v[70:71], v0
	s_andn2_b32 s26, s40, exec_lo
	s_mov_b32 s29, 0
	s_waitcnt vmcnt(0) lgkmcnt(0)
	s_waitcnt_vscnt null, 0x0
	flat_load_dword v16, v[70:71] glc dlc
	s_waitcnt vmcnt(0) lgkmcnt(0)
	buffer_gl1_inv
	buffer_gl0_inv
	v_cmp_eq_u32_e64 s10, 0, v16
	s_and_b32 s10, s10, exec_lo
	s_or_b32 s40, s26, s10
	s_mov_b32 s26, 0
	v_mov_b32_e32 v45, 1
	s_and_saveexec_b32 s41, s40
	s_cbranch_execz .LBB2_47
.LBB2_53:                               ;   in Loop: Header=BB2_49 Depth=2
	s_waitcnt vmcnt(0) lgkmcnt(0)
	v_add_co_u32 v70, s10, v52, 8
	v_add_co_ci_u32_e64 v71, null, 0, v53, s10
	v_mov_b32_e32 v45, 0
	s_or_b32 s29, s29, exec_lo
	v_cmp_ge_u64_e64 s10, v[70:71], v[17:18]
	s_orn2_b32 s28, s10, exec_lo
	s_branch .LBB2_47
.LBB2_54:                               ;   in Loop: Header=BB2_44 Depth=1
	s_or_b32 exec_lo, exec_lo, s22
	s_xor_b32 s10, s23, -1
	s_and_saveexec_b32 s22, s10
	s_xor_b32 s10, exec_lo, s22
	s_cbranch_execz .LBB2_56
; %bb.55:                               ;   in Loop: Header=BB2_44 Depth=1
	v_mov_b32_e32 v45, 1
	s_waitcnt vmcnt(0) lgkmcnt(0)
	s_waitcnt_vscnt null, 0x0
	ds_write_b32 v0, v16
	s_trap 2
.LBB2_56:                               ;   in Loop: Header=BB2_44 Depth=1
	s_or_b32 exec_lo, exec_lo, s10
.LBB2_57:                               ;   in Loop: Header=BB2_44 Depth=1
	s_or_b32 exec_lo, exec_lo, s12
	s_and_saveexec_b32 s10, s6
	s_cbranch_execz .LBB2_59
; %bb.58:                               ;   in Loop: Header=BB2_44 Depth=1
	v_and_b32_e32 v54, 0x7ffffff8, v15
	v_and_b32_e32 v16, 7, v15
	v_cmp_eq_u64_e32 vcc_lo, 0x7ffffff8, v[54:55]
	v_mad_u64_u32 v[70:71], null, v16, 24, v[13:14]
	v_cndmask_b32_e64 v15, v47, s15, vcc_lo
	v_ashrrev_i32_e32 v16, 31, v15
	flat_store_dwordx2 v[70:71], v[15:16] offset:8
	s_waitcnt_vscnt null, 0x0
.LBB2_59:                               ;   in Loop: Header=BB2_44 Depth=1
	s_or_b32 exec_lo, exec_lo, s10
	v_mov_b32_e32 v15, v17
	v_mov_b32_e32 v16, v18
.LBB2_60:                               ;   in Loop: Header=BB2_44 Depth=1
	s_or_b32 exec_lo, exec_lo, s11
	s_and_saveexec_b32 s10, s7
	s_cbranch_execz .LBB2_79
; %bb.61:                               ;   in Loop: Header=BB2_44 Depth=1
	s_and_saveexec_b32 s11, s19
	s_xor_b32 s11, exec_lo, s11
	s_cbranch_execz .LBB2_76
; %bb.62:                               ;   in Loop: Header=BB2_44 Depth=1
	s_and_saveexec_b32 s12, s8
	s_cbranch_execz .LBB2_75
; %bb.63:                               ;   in Loop: Header=BB2_44 Depth=1
	s_mov_b32 s23, exec_lo
	s_mov_b32 s22, exec_lo
	v_mbcnt_lo_u32_b32 v17, s23, 0
	s_waitcnt vmcnt(0) lgkmcnt(0)
	s_waitcnt_vscnt null, 0x0
	buffer_gl1_inv
	buffer_gl0_inv
	v_cmpx_eq_u32_e32 0, v17
	s_cbranch_execz .LBB2_65
; %bb.64:                               ;   in Loop: Header=BB2_44 Depth=1
	s_bcnt1_i32_b32 s23, s23
	v_mov_b32_e32 v54, s23
	ds_add_u64 v0, v[54:55]
	s_trap 2
.LBB2_65:                               ;   in Loop: Header=BB2_44 Depth=1
	s_or_b32 exec_lo, exec_lo, s22
	s_trap 2
	ds_read_b64 v[17:18], v0
	s_waitcnt lgkmcnt(0)
	buffer_gl0_inv
	v_add_co_u32 v2, vcc_lo, v2, v102
	v_add_co_ci_u32_e64 v3, null, 0, v3, vcc_lo
	s_mov_b32 s22, exec_lo
	v_cmpx_lt_u64_e64 v[17:18], v[2:3]
	s_cbranch_execz .LBB2_74
; %bb.66:                               ;   in Loop: Header=BB2_44 Depth=1
	s_mov_b32 s23, 0
	s_mov_b32 s26, 0
                                        ; implicit-def: $sgpr24
                                        ; implicit-def: $sgpr25
	s_inst_prefetch 0x1
	s_branch .LBB2_68
	.p2align	6
.LBB2_67:                               ;   in Loop: Header=BB2_68 Depth=2
	s_or_b32 exec_lo, exec_lo, s28
	s_and_b32 s27, exec_lo, s29
	s_or_b32 s23, s27, s23
	s_andn2_b32 s24, s24, exec_lo
	s_and_b32 s27, s25, exec_lo
	s_or_b32 s24, s24, s27
	s_andn2_b32 exec_lo, exec_lo, s23
	s_cbranch_execz .LBB2_72
.LBB2_68:                               ;   Parent Loop BB2_44 Depth=1
                                        ; =>  This Inner Loop Header: Depth=2
	s_add_i32 s26, s26, 1
	s_cmpk_lg_i32 s26, 0x2710
	s_cselect_b32 s27, -1, 0
	s_and_b32 vcc_lo, exec_lo, s27
	s_cbranch_vccz .LBB2_70
; %bb.69:                               ;   in Loop: Header=BB2_68 Depth=2
	s_mov_b32 s29, -1
	s_or_b32 s25, s25, exec_lo
	s_and_saveexec_b32 s28, s27
	s_cbranch_execz .LBB2_67
	s_branch .LBB2_71
	.p2align	6
.LBB2_70:                               ;   in Loop: Header=BB2_68 Depth=2
	s_trap 2
	ds_read_b64 v[17:18], v0
	s_andn2_b32 s27, s27, exec_lo
	s_mov_b32 s26, 0
	s_waitcnt lgkmcnt(0)
	flat_load_dword v17, v[17:18] glc dlc
	s_waitcnt vmcnt(0) lgkmcnt(0)
	buffer_gl1_inv
	buffer_gl0_inv
	v_cmp_eq_u32_e32 vcc_lo, 0, v17
	s_and_b32 s28, vcc_lo, exec_lo
	s_or_b32 s27, s27, s28
	s_mov_b32 s29, -1
	s_or_b32 s25, s25, exec_lo
	s_and_saveexec_b32 s28, s27
	s_cbranch_execz .LBB2_67
.LBB2_71:                               ;   in Loop: Header=BB2_68 Depth=2
	s_sleep 1
	s_trap 2
	ds_read_b64 v[17:18], v0
	s_waitcnt lgkmcnt(0)
	buffer_gl0_inv
	s_andn2_b32 s25, s25, exec_lo
	v_cmp_ge_u64_e32 vcc_lo, v[17:18], v[2:3]
	s_orn2_b32 s29, vcc_lo, exec_lo
	s_branch .LBB2_67
.LBB2_72:                               ;   in Loop: Header=BB2_44 Depth=1
	s_inst_prefetch 0x2
	s_or_b32 exec_lo, exec_lo, s23
	s_and_saveexec_b32 s23, s24
	s_xor_b32 s23, exec_lo, s23
	s_cbranch_execz .LBB2_74
; %bb.73:                               ;   in Loop: Header=BB2_44 Depth=1
	ds_write_b32 v0, v119
	s_trap 2
.LBB2_74:                               ;   in Loop: Header=BB2_44 Depth=1
	s_or_b32 exec_lo, exec_lo, s22
	;;#ASMSTART
	s_wakeup
	;;#ASMEND
.LBB2_75:                               ;   in Loop: Header=BB2_44 Depth=1
	s_or_b32 exec_lo, exec_lo, s12
.LBB2_76:                               ;   in Loop: Header=BB2_44 Depth=1
	s_andn2_saveexec_b32 s11, s11
	s_cbranch_execz .LBB2_78
; %bb.77:                               ;   in Loop: Header=BB2_44 Depth=1
	s_waitcnt vmcnt(0) lgkmcnt(0)
	s_waitcnt_vscnt null, 0x0
	buffer_gl1_inv
	buffer_gl0_inv
	s_barrier
.LBB2_78:                               ;   in Loop: Header=BB2_44 Depth=1
	s_or_b32 exec_lo, exec_lo, s11
.LBB2_79:                               ;   in Loop: Header=BB2_44 Depth=1
	s_or_b32 exec_lo, exec_lo, s10
	v_sub_nc_u32_e32 v46, v20, v101
	v_and_b32_e32 v71, 7, v21
	v_add_nc_u32_e32 v18, 1, v21
	v_mov_b32_e32 v70, v4
	v_cmp_lt_i32_e64 s10, 0, v46
	s_and_saveexec_b32 s12, s10
	s_cbranch_execz .LBB2_215
; %bb.80:                               ;   in Loop: Header=BB2_44 Depth=1
	v_mul_lo_u32 v82, v71, s18
	s_waitcnt vmcnt(0) lgkmcnt(0)
	v_ashrrev_i32_e32 v17, 31, v19
	v_mad_u64_u32 v[80:81], null, v99, v19, v[5:6]
	v_mul_lo_u32 v54, v100, v19
	v_mul_lo_u32 v70, v99, v19
	;; [unrolled: 1-line block ×3, first 2 shown]
	v_mov_b32_e32 v84, v46
	v_ashrrev_i32_e32 v83, 31, v82
	s_mov_b32 s22, 0
	v_add_lshl_u32 v85, v5, v70, 3
	v_lshlrev_b64 v[19:20], 4, v[82:83]
	v_add3_u32 v81, v54, v81, v17
	v_mov_b32_e32 v70, v4
	v_add_co_u32 v82, vcc_lo, v117, v19
	v_add_co_ci_u32_e64 v83, null, v118, v20, vcc_lo
	s_branch .LBB2_84
.LBB2_81:                               ;   in Loop: Header=BB2_84 Depth=2
	s_or_b32 exec_lo, exec_lo, s11
	v_lshrrev_b32_e32 v57, 20, v57
	v_min_i32_e32 v58, 15, v56
	v_cmp_gt_i32_e32 vcc_lo, 16, v56
	v_and_b32_sdwa v86, v86, v41 dst_sel:DWORD dst_unused:UNUSED_PAD src0_sel:BYTE_3 src1_sel:DWORD
	v_lshlrev_b32_e32 v58, 3, v58
	v_cndmask_b32_e32 v57, 7, v57, vcc_lo
	v_and_b32_e32 v58, 0xf8, v58
	v_and_b32_e32 v59, 7, v57
	v_or_b32_e32 v56, v56, v57
	v_or3_b32 v86, v86, v58, v59
	v_cmp_ne_u32_e32 vcc_lo, 0, v56
	v_lshlrev_b32_e32 v86, 8, v86
	v_cndmask_b32_e32 v56, 0, v86, vcc_lo
.LBB2_82:                               ;   in Loop: Header=BB2_84 Depth=2
	s_or_b32 exec_lo, exec_lo, s24
.LBB2_83:                               ;   in Loop: Header=BB2_84 Depth=2
	s_or_b32 exec_lo, exec_lo, s23
	v_or_b32_e32 v17, v19, v17
	v_or_b32_sdwa v19, v54, v20 dst_sel:WORD_1 dst_unused:UNUSED_PAD src0_sel:DWORD src1_sel:DWORD
	v_or_b32_e32 v54, v96, v87
	v_or_b32_sdwa v86, v56, v97 dst_sel:WORD_1 dst_unused:UNUSED_PAD src0_sel:DWORD src1_sel:DWORD
	v_mov_b32_e32 v20, v18
	v_sub_nc_u32_e32 v84, v84, v103
	v_or3_b32 v17, v17, v19, 0
	v_add_co_u32 v80, vcc_lo, v80, v103
	v_or3_b32 v19, v54, v86, 0
	v_add_co_ci_u32_e64 v81, null, 0, v81, vcc_lo
	v_cmp_gt_i32_e32 vcc_lo, 1, v84
	v_add_nc_u32_e32 v70, v70, v1
	global_store_dwordx4 v[82:83], v[17:20], off
	v_add_co_u32 v82, s11, v82, v9
	v_add_nc_u32_e32 v85, v85, v116
	v_add_co_ci_u32_e64 v83, null, v83, v10, s11
	s_or_b32 s22, vcc_lo, s22
	s_andn2_b32 exec_lo, exec_lo, s22
	s_cbranch_execz .LBB2_214
.LBB2_84:                               ;   Parent Loop BB2_44 Depth=1
                                        ; =>  This Inner Loop Header: Depth=2
	v_and_b32_e32 v19, -4, v80
	v_mov_b32_e32 v20, v81
	v_min_u32_e32 v54, 8, v84
	v_and_b32_e32 v86, 3, v80
	v_mov_b32_e32 v87, 0
	s_mov_b32 s11, exec_lo
	global_load_dword v17, v[19:20], off slc
	v_add_nc_u32_e32 v54, v86, v54
	v_mov_b32_e32 v86, 0
	v_cmpx_lt_u32_e32 4, v54
	s_cbranch_execz .LBB2_86
; %bb.85:                               ;   in Loop: Header=BB2_84 Depth=2
	global_load_dword v87, v[19:20], off offset:4 slc
.LBB2_86:                               ;   in Loop: Header=BB2_84 Depth=2
	s_or_b32 exec_lo, exec_lo, s11
	s_mov_b32 s11, exec_lo
	v_cmpx_lt_u64_e32 8, v[54:55]
	s_cbranch_execz .LBB2_88
; %bb.87:                               ;   in Loop: Header=BB2_84 Depth=2
	global_load_dword v86, v[19:20], off offset:8 slc
.LBB2_88:                               ;   in Loop: Header=BB2_84 Depth=2
	s_or_b32 exec_lo, exec_lo, s11
	s_waitcnt vmcnt(0)
	v_alignbit_b32 v54, v87, v17, v85
	s_mov_b32 s11, 0
	v_cmp_gt_i16_sdwa s23, v54, v40 src0_sel:BYTE_0 src1_sel:DWORD
	s_and_saveexec_b32 s24, s23
	s_xor_b32 s23, exec_lo, s24
	s_cbranch_execnz .LBB2_182
; %bb.89:                               ;   in Loop: Header=BB2_84 Depth=2
	s_or_saveexec_b32 s23, s23
	v_mov_b32_e32 v17, 0x7f800001
	s_xor_b32 exec_lo, exec_lo, s23
	s_cbranch_execnz .LBB2_185
.LBB2_90:                               ;   in Loop: Header=BB2_84 Depth=2
	s_or_b32 exec_lo, exec_lo, s23
	s_and_saveexec_b32 s23, s11
	s_cbranch_execz .LBB2_92
.LBB2_91:                               ;   in Loop: Header=BB2_84 Depth=2
	v_and_b32_e32 v17, 7, v54
	v_bfe_u32 v96, v54, 3, 4
	v_lshlrev_b32_e32 v97, 24, v54
	v_ffbh_u32_e32 v19, v17
	v_cmp_eq_u32_e32 vcc_lo, 0, v96
	v_min_u32_e32 v19, 32, v19
	v_subrev_nc_u32_e32 v20, 28, v19
	v_sub_nc_u32_e32 v19, 29, v19
	v_lshlrev_b32_e32 v20, v20, v54
	v_cndmask_b32_e32 v19, v96, v19, vcc_lo
	v_and_b32_e32 v20, 7, v20
	v_lshl_add_u32 v19, v19, 23, 0x3b800000
	v_cndmask_b32_e32 v17, v17, v20, vcc_lo
	v_and_b32_e32 v20, 0x80000000, v97
	v_lshlrev_b32_e32 v17, 20, v17
	v_or3_b32 v17, v20, v19, v17
.LBB2_92:                               ;   in Loop: Header=BB2_84 Depth=2
	s_or_b32 exec_lo, exec_lo, s23
	v_mul_f32_e32 v19, v0, v17
	v_and_b32_e32 v17, 0x7f800000, v19
	v_cmp_ne_u32_e32 vcc_lo, 0x7f800000, v17
	v_mov_b32_e32 v17, 0x80
	s_and_saveexec_b32 s23, vcc_lo
	s_cbranch_execz .LBB2_100
; %bb.93:                               ;   in Loop: Header=BB2_84 Depth=2
	v_mov_b32_e32 v17, 0
	s_mov_b32 s24, exec_lo
	v_cmpx_ne_u32_e32 0, v19
	s_cbranch_execz .LBB2_99
; %bb.94:                               ;   in Loop: Header=BB2_84 Depth=2
	v_bfe_u32 v17, v19, 23, 8
	v_and_b32_e32 v20, 0x7fffff, v19
	v_sub_nc_u32_e32 v96, 0x78, v17
	v_cmp_gt_u32_e32 vcc_lo, 0x79, v17
	v_or_b32_e32 v97, 0x800000, v20
	v_cndmask_b32_e32 v96, 0, v96, vcc_lo
	v_cmp_eq_u32_e32 vcc_lo, 0, v17
	v_add_nc_u32_e32 v17, 0xffffff89, v17
	v_cndmask_b32_e64 v96, v96, 0x77, vcc_lo
	v_cndmask_b32_e32 v20, v97, v20, vcc_lo
	v_cndmask_b32_e64 v17, v17, 0xffffff8a, vcc_lo
	v_lshl_add_u32 v97, 0x100000, v96, -1
	v_lshrrev_b32_e32 v56, v96, v20
	v_lshlrev_b32_e64 v58, v96, 0x80000
	v_add_nc_u32_e32 v96, v96, v17
	v_and_b32_e32 v20, v97, v20
	v_bfe_u32 v57, v56, 20, 1
	v_cmp_eq_u32_e64 s11, v20, v58
	v_add_nc_u32_e32 v97, -1, v57
	v_cndmask_b32_e64 v20, 0, v97, s11
	v_lshrrev_b32_e32 v97, 23, v56
	s_mov_b32 s11, exec_lo
	v_add_nc_u32_e32 v20, v20, v56
	v_xor_b32_e32 v97, 1, v97
	v_and_b32_e32 v17, 0xfffff, v20
	v_add_nc_u32_e32 v20, v17, v56
                                        ; implicit-def: $vgpr17
	v_cmpx_ne_u32_e64 v96, v97
	s_xor_b32 s11, exec_lo, s11
; %bb.95:                               ;   in Loop: Header=BB2_84 Depth=2
	v_cmp_lt_u32_e32 vcc_lo, 0xffffff, v20
	v_sub_nc_u32_e32 v17, v96, v97
	v_cndmask_b32_e64 v96, 0, 1, vcc_lo
	v_add_co_ci_u32_e64 v17, null, 0, v17, vcc_lo
	v_lshrrev_b32_e32 v20, v96, v20
; %bb.96:                               ;   in Loop: Header=BB2_84 Depth=2
	s_andn2_saveexec_b32 s11, s11
; %bb.97:                               ;   in Loop: Header=BB2_84 Depth=2
	v_bfe_u32 v17, v20, 23, 1
; %bb.98:                               ;   in Loop: Header=BB2_84 Depth=2
	s_or_b32 exec_lo, exec_lo, s11
	v_lshrrev_b32_e32 v20, 20, v20
	v_min_i32_e32 v96, 15, v17
	v_cmp_gt_i32_e32 vcc_lo, 16, v17
	v_and_b32_sdwa v19, v19, v41 dst_sel:DWORD dst_unused:UNUSED_PAD src0_sel:BYTE_3 src1_sel:DWORD
	v_lshlrev_b32_e32 v96, 3, v96
	v_cndmask_b32_e32 v20, 7, v20, vcc_lo
	v_and_b32_e32 v96, 0xf8, v96
	v_and_b32_e32 v97, 7, v20
	v_or_b32_e32 v17, v17, v20
	v_or3_b32 v19, v96, v19, v97
	v_cmp_ne_u32_e32 vcc_lo, 0, v17
	v_cndmask_b32_e32 v17, 0, v19, vcc_lo
.LBB2_99:                               ;   in Loop: Header=BB2_84 Depth=2
	s_or_b32 exec_lo, exec_lo, s24
.LBB2_100:                              ;   in Loop: Header=BB2_84 Depth=2
	s_or_b32 exec_lo, exec_lo, s23
	v_cmp_gt_i16_sdwa s23, v54, v40 src0_sel:BYTE_1 src1_sel:DWORD
	s_mov_b32 s11, 0
	s_and_saveexec_b32 s24, s23
	s_xor_b32 s23, exec_lo, s24
	s_cbranch_execnz .LBB2_186
; %bb.101:                              ;   in Loop: Header=BB2_84 Depth=2
	s_or_saveexec_b32 s23, s23
	v_mov_b32_e32 v19, 0x7f800001
	s_xor_b32 exec_lo, exec_lo, s23
	s_cbranch_execnz .LBB2_189
.LBB2_102:                              ;   in Loop: Header=BB2_84 Depth=2
	s_or_b32 exec_lo, exec_lo, s23
	s_and_saveexec_b32 s23, s11
	s_cbranch_execz .LBB2_104
.LBB2_103:                              ;   in Loop: Header=BB2_84 Depth=2
	v_and_b32_sdwa v19, v42, v54 dst_sel:DWORD dst_unused:UNUSED_PAD src0_sel:DWORD src1_sel:BYTE_1
	v_and_b32_e32 v20, 7, v19
	v_bfe_u32 v56, v19, 3, 4
	v_ffbh_u32_e32 v96, v20
	v_cmp_eq_u32_e32 vcc_lo, 0, v56
	v_min_u32_e32 v96, 32, v96
	v_subrev_nc_u32_e32 v97, 28, v96
	v_sub_nc_u32_e32 v96, 29, v96
	v_lshlrev_b32_e32 v19, v97, v19
	v_lshlrev_b32_sdwa v97, v43, v54 dst_sel:DWORD dst_unused:UNUSED_PAD src0_sel:DWORD src1_sel:BYTE_1
	v_cndmask_b32_e32 v96, v56, v96, vcc_lo
	v_and_b32_e32 v19, 7, v19
	v_lshl_add_u32 v96, v96, 23, 0x3b800000
	v_cndmask_b32_e32 v19, v20, v19, vcc_lo
	v_and_b32_e32 v20, 0x80000000, v97
	v_lshlrev_b32_e32 v19, 20, v19
	v_or3_b32 v19, v20, v96, v19
.LBB2_104:                              ;   in Loop: Header=BB2_84 Depth=2
	s_or_b32 exec_lo, exec_lo, s23
	v_mul_f32_e32 v20, v0, v19
	v_and_b32_e32 v19, 0x7f800000, v20
	v_cmp_ne_u32_e32 vcc_lo, 0x7f800000, v19
	v_mov_b32_e32 v19, 0x8000
	s_and_saveexec_b32 s23, vcc_lo
	s_cbranch_execz .LBB2_112
; %bb.105:                              ;   in Loop: Header=BB2_84 Depth=2
	v_mov_b32_e32 v19, 0
	s_mov_b32 s24, exec_lo
	v_cmpx_ne_u32_e32 0, v20
	s_cbranch_execz .LBB2_111
; %bb.106:                              ;   in Loop: Header=BB2_84 Depth=2
	v_bfe_u32 v19, v20, 23, 8
	v_and_b32_e32 v96, 0x7fffff, v20
	v_sub_nc_u32_e32 v97, 0x78, v19
	v_cmp_gt_u32_e32 vcc_lo, 0x79, v19
	v_or_b32_e32 v56, 0x800000, v96
	v_cndmask_b32_e32 v97, 0, v97, vcc_lo
	v_cmp_eq_u32_e32 vcc_lo, 0, v19
	v_add_nc_u32_e32 v19, 0xffffff89, v19
	v_cndmask_b32_e64 v97, v97, 0x77, vcc_lo
	v_cndmask_b32_e32 v96, v56, v96, vcc_lo
	v_cndmask_b32_e64 v19, v19, 0xffffff8a, vcc_lo
	v_lshl_add_u32 v56, 0x100000, v97, -1
	v_lshrrev_b32_e32 v57, v97, v96
	v_lshlrev_b32_e64 v59, v97, 0x80000
	v_add_nc_u32_e32 v97, v97, v19
	v_and_b32_e32 v96, v56, v96
	v_bfe_u32 v58, v57, 20, 1
	v_cmp_eq_u32_e64 s11, v96, v59
	v_add_nc_u32_e32 v56, -1, v58
	v_cndmask_b32_e64 v96, 0, v56, s11
	v_lshrrev_b32_e32 v56, 23, v57
	s_mov_b32 s11, exec_lo
	v_add_nc_u32_e32 v96, v96, v57
	v_xor_b32_e32 v56, 1, v56
	v_and_b32_e32 v19, 0xfffff, v96
	v_add_nc_u32_e32 v96, v19, v57
                                        ; implicit-def: $vgpr19
	v_cmpx_ne_u32_e64 v97, v56
	s_xor_b32 s11, exec_lo, s11
; %bb.107:                              ;   in Loop: Header=BB2_84 Depth=2
	v_cmp_lt_u32_e32 vcc_lo, 0xffffff, v96
	v_sub_nc_u32_e32 v19, v97, v56
	v_cndmask_b32_e64 v97, 0, 1, vcc_lo
	v_add_co_ci_u32_e64 v19, null, 0, v19, vcc_lo
	v_lshrrev_b32_e32 v96, v97, v96
; %bb.108:                              ;   in Loop: Header=BB2_84 Depth=2
	s_andn2_saveexec_b32 s11, s11
; %bb.109:                              ;   in Loop: Header=BB2_84 Depth=2
	v_bfe_u32 v19, v96, 23, 1
; %bb.110:                              ;   in Loop: Header=BB2_84 Depth=2
	s_or_b32 exec_lo, exec_lo, s11
	v_lshrrev_b32_e32 v96, 20, v96
	v_min_i32_e32 v97, 15, v19
	v_cmp_gt_i32_e32 vcc_lo, 16, v19
	v_and_b32_sdwa v20, v20, v41 dst_sel:DWORD dst_unused:UNUSED_PAD src0_sel:BYTE_3 src1_sel:DWORD
	v_lshlrev_b32_e32 v97, 3, v97
	v_cndmask_b32_e32 v96, 7, v96, vcc_lo
	v_and_b32_e32 v97, 0xf8, v97
	v_and_b32_e32 v56, 7, v96
	v_or_b32_e32 v19, v19, v96
	v_or3_b32 v20, v20, v97, v56
	v_cmp_ne_u32_e32 vcc_lo, 0, v19
	v_lshlrev_b32_e32 v20, 8, v20
	v_cndmask_b32_e32 v19, 0, v20, vcc_lo
.LBB2_111:                              ;   in Loop: Header=BB2_84 Depth=2
	s_or_b32 exec_lo, exec_lo, s24
.LBB2_112:                              ;   in Loop: Header=BB2_84 Depth=2
	s_or_b32 exec_lo, exec_lo, s23
	v_and_b32_sdwa v96, v54, v44 dst_sel:DWORD dst_unused:UNUSED_PAD src0_sel:WORD_1 src1_sel:DWORD
	s_mov_b32 s11, 0
	s_mov_b32 s23, exec_lo
	v_cmpx_lt_i16_e32 0x7f, v96
	s_xor_b32 s23, exec_lo, s23
	s_cbranch_execnz .LBB2_190
; %bb.113:                              ;   in Loop: Header=BB2_84 Depth=2
	s_or_saveexec_b32 s23, s23
	v_mov_b32_e32 v20, 0x7f800001
	s_xor_b32 exec_lo, exec_lo, s23
	s_cbranch_execnz .LBB2_193
.LBB2_114:                              ;   in Loop: Header=BB2_84 Depth=2
	s_or_b32 exec_lo, exec_lo, s23
	s_and_saveexec_b32 s23, s11
	s_cbranch_execz .LBB2_116
.LBB2_115:                              ;   in Loop: Header=BB2_84 Depth=2
	v_bfe_u32 v20, v54, 16, 3
	v_bfe_u32 v56, v54, 19, 4
	v_lshlrev_b32_e32 v57, 8, v54
	v_ffbh_u32_e32 v96, v20
	v_cmp_eq_u32_e32 vcc_lo, 0, v56
	v_min_u32_e32 v96, 32, v96
	v_subrev_nc_u32_e32 v97, 28, v96
	v_sub_nc_u32_e32 v96, 29, v96
	v_lshlrev_b32_sdwa v97, v97, v54 dst_sel:DWORD dst_unused:UNUSED_PAD src0_sel:DWORD src1_sel:WORD_1
	v_cndmask_b32_e32 v96, v56, v96, vcc_lo
	v_and_b32_e32 v97, 7, v97
	v_lshl_add_u32 v96, v96, 23, 0x3b800000
	v_cndmask_b32_e32 v20, v20, v97, vcc_lo
	v_and_b32_e32 v97, 0x80000000, v57
	v_lshlrev_b32_e32 v20, 20, v20
	v_or3_b32 v20, v97, v96, v20
.LBB2_116:                              ;   in Loop: Header=BB2_84 Depth=2
	s_or_b32 exec_lo, exec_lo, s23
	v_mul_f32_e32 v96, v0, v20
	v_and_b32_e32 v20, 0x7f800000, v96
	v_cmp_ne_u32_e32 vcc_lo, 0x7f800000, v20
	v_mov_b32_e32 v20, 0x80
	s_and_saveexec_b32 s23, vcc_lo
	s_cbranch_execz .LBB2_124
; %bb.117:                              ;   in Loop: Header=BB2_84 Depth=2
	v_mov_b32_e32 v20, 0
	s_mov_b32 s24, exec_lo
	v_cmpx_ne_u32_e32 0, v96
	s_cbranch_execz .LBB2_123
; %bb.118:                              ;   in Loop: Header=BB2_84 Depth=2
	v_bfe_u32 v20, v96, 23, 8
	v_and_b32_e32 v97, 0x7fffff, v96
	v_sub_nc_u32_e32 v56, 0x78, v20
	v_cmp_gt_u32_e32 vcc_lo, 0x79, v20
	v_or_b32_e32 v57, 0x800000, v97
	v_cndmask_b32_e32 v56, 0, v56, vcc_lo
	v_cmp_eq_u32_e32 vcc_lo, 0, v20
	v_add_nc_u32_e32 v20, 0xffffff89, v20
	v_cndmask_b32_e64 v56, v56, 0x77, vcc_lo
	v_cndmask_b32_e32 v97, v57, v97, vcc_lo
	v_cndmask_b32_e64 v20, v20, 0xffffff8a, vcc_lo
	v_lshl_add_u32 v57, 0x100000, v56, -1
	v_lshrrev_b32_e32 v58, v56, v97
	v_lshlrev_b32_e64 v60, v56, 0x80000
	v_add_nc_u32_e32 v56, v56, v20
	v_and_b32_e32 v97, v57, v97
	v_bfe_u32 v59, v58, 20, 1
	v_cmp_eq_u32_e64 s11, v97, v60
	v_add_nc_u32_e32 v57, -1, v59
	v_cndmask_b32_e64 v97, 0, v57, s11
	v_lshrrev_b32_e32 v57, 23, v58
	s_mov_b32 s11, exec_lo
	v_add_nc_u32_e32 v97, v97, v58
	v_xor_b32_e32 v57, 1, v57
	v_and_b32_e32 v20, 0xfffff, v97
	v_add_nc_u32_e32 v97, v20, v58
                                        ; implicit-def: $vgpr20
	v_cmpx_ne_u32_e64 v56, v57
	s_xor_b32 s11, exec_lo, s11
; %bb.119:                              ;   in Loop: Header=BB2_84 Depth=2
	v_cmp_lt_u32_e32 vcc_lo, 0xffffff, v97
	v_sub_nc_u32_e32 v20, v56, v57
	v_cndmask_b32_e64 v56, 0, 1, vcc_lo
	v_add_co_ci_u32_e64 v20, null, 0, v20, vcc_lo
	v_lshrrev_b32_e32 v97, v56, v97
; %bb.120:                              ;   in Loop: Header=BB2_84 Depth=2
	s_andn2_saveexec_b32 s11, s11
; %bb.121:                              ;   in Loop: Header=BB2_84 Depth=2
	v_bfe_u32 v20, v97, 23, 1
; %bb.122:                              ;   in Loop: Header=BB2_84 Depth=2
	s_or_b32 exec_lo, exec_lo, s11
	v_lshrrev_b32_e32 v97, 20, v97
	v_min_i32_e32 v56, 15, v20
	v_cmp_gt_i32_e32 vcc_lo, 16, v20
	v_and_b32_sdwa v96, v96, v41 dst_sel:DWORD dst_unused:UNUSED_PAD src0_sel:BYTE_3 src1_sel:DWORD
	v_lshlrev_b32_e32 v56, 3, v56
	v_cndmask_b32_e32 v97, 7, v97, vcc_lo
	v_and_b32_e32 v56, 0xf8, v56
	v_and_b32_e32 v57, 7, v97
	v_or_b32_e32 v20, v20, v97
	v_or3_b32 v96, v56, v96, v57
	v_cmp_ne_u32_e32 vcc_lo, 0, v20
	v_cndmask_b32_e32 v20, 0, v96, vcc_lo
.LBB2_123:                              ;   in Loop: Header=BB2_84 Depth=2
	s_or_b32 exec_lo, exec_lo, s24
.LBB2_124:                              ;   in Loop: Header=BB2_84 Depth=2
	s_or_b32 exec_lo, exec_lo, s23
	v_cmp_gt_i16_sdwa s23, v54, v40 src0_sel:BYTE_3 src1_sel:DWORD
	s_mov_b32 s11, 0
	s_and_saveexec_b32 s24, s23
	s_xor_b32 s23, exec_lo, s24
	s_cbranch_execnz .LBB2_194
; %bb.125:                              ;   in Loop: Header=BB2_84 Depth=2
	s_or_saveexec_b32 s23, s23
	v_mov_b32_e32 v96, 0x7f800001
	s_xor_b32 exec_lo, exec_lo, s23
	s_cbranch_execnz .LBB2_197
.LBB2_126:                              ;   in Loop: Header=BB2_84 Depth=2
	s_or_b32 exec_lo, exec_lo, s23
	s_and_saveexec_b32 s23, s11
	s_cbranch_execz .LBB2_128
.LBB2_127:                              ;   in Loop: Header=BB2_84 Depth=2
	v_bfe_u32 v96, v54, 24, 3
	v_bfe_u32 v57, v54, 27, 4
	v_ffbh_u32_e32 v97, v96
	v_cmp_eq_u32_e32 vcc_lo, 0, v57
	v_min_u32_e32 v97, 32, v97
	v_subrev_nc_u32_e32 v56, 28, v97
	v_sub_nc_u32_e32 v97, 29, v97
	v_lshlrev_b32_sdwa v56, v56, v54 dst_sel:DWORD dst_unused:UNUSED_PAD src0_sel:DWORD src1_sel:BYTE_3
	v_cndmask_b32_e32 v97, v57, v97, vcc_lo
	v_and_b32_e32 v54, 0x80000000, v54
	v_and_b32_e32 v56, 7, v56
	v_lshl_add_u32 v97, v97, 23, 0x3b800000
	v_cndmask_b32_e32 v96, v96, v56, vcc_lo
	v_lshlrev_b32_e32 v96, 20, v96
	v_or3_b32 v96, v54, v97, v96
.LBB2_128:                              ;   in Loop: Header=BB2_84 Depth=2
	s_or_b32 exec_lo, exec_lo, s23
	v_mul_f32_e32 v96, v0, v96
	v_and_b32_e32 v54, 0x7f800000, v96
	v_cmp_ne_u32_e32 vcc_lo, 0x7f800000, v54
	v_mov_b32_e32 v54, 0x8000
	s_and_saveexec_b32 s23, vcc_lo
	s_cbranch_execz .LBB2_136
; %bb.129:                              ;   in Loop: Header=BB2_84 Depth=2
	v_mov_b32_e32 v54, 0
	s_mov_b32 s24, exec_lo
	v_cmpx_ne_u32_e32 0, v96
	s_cbranch_execz .LBB2_135
; %bb.130:                              ;   in Loop: Header=BB2_84 Depth=2
	v_bfe_u32 v54, v96, 23, 8
	v_and_b32_e32 v97, 0x7fffff, v96
	v_sub_nc_u32_e32 v56, 0x78, v54
	v_cmp_gt_u32_e32 vcc_lo, 0x79, v54
	v_or_b32_e32 v57, 0x800000, v97
	v_cndmask_b32_e32 v56, 0, v56, vcc_lo
	v_cmp_eq_u32_e32 vcc_lo, 0, v54
	v_add_nc_u32_e32 v54, 0xffffff89, v54
	v_cndmask_b32_e64 v56, v56, 0x77, vcc_lo
	v_cndmask_b32_e32 v97, v57, v97, vcc_lo
	v_cndmask_b32_e64 v54, v54, 0xffffff8a, vcc_lo
	v_lshl_add_u32 v57, 0x100000, v56, -1
	v_lshrrev_b32_e32 v58, v56, v97
	v_lshlrev_b32_e64 v60, v56, 0x80000
	v_add_nc_u32_e32 v56, v56, v54
	v_and_b32_e32 v97, v57, v97
	v_bfe_u32 v59, v58, 20, 1
	v_cmp_eq_u32_e64 s11, v97, v60
	v_add_nc_u32_e32 v57, -1, v59
	v_cndmask_b32_e64 v97, 0, v57, s11
	v_lshrrev_b32_e32 v57, 23, v58
	s_mov_b32 s11, exec_lo
	v_add_nc_u32_e32 v97, v97, v58
	v_xor_b32_e32 v57, 1, v57
	v_and_b32_e32 v54, 0xfffff, v97
	v_add_nc_u32_e32 v97, v54, v58
                                        ; implicit-def: $vgpr54
	v_cmpx_ne_u32_e64 v56, v57
	s_xor_b32 s11, exec_lo, s11
; %bb.131:                              ;   in Loop: Header=BB2_84 Depth=2
	v_cmp_lt_u32_e32 vcc_lo, 0xffffff, v97
	v_sub_nc_u32_e32 v54, v56, v57
	v_cndmask_b32_e64 v56, 0, 1, vcc_lo
	v_add_co_ci_u32_e64 v54, null, 0, v54, vcc_lo
	v_lshrrev_b32_e32 v97, v56, v97
; %bb.132:                              ;   in Loop: Header=BB2_84 Depth=2
	s_andn2_saveexec_b32 s11, s11
; %bb.133:                              ;   in Loop: Header=BB2_84 Depth=2
	v_bfe_u32 v54, v97, 23, 1
; %bb.134:                              ;   in Loop: Header=BB2_84 Depth=2
	s_or_b32 exec_lo, exec_lo, s11
	v_lshrrev_b32_e32 v97, 20, v97
	v_min_i32_e32 v56, 15, v54
	v_cmp_gt_i32_e32 vcc_lo, 16, v54
	v_and_b32_sdwa v96, v96, v41 dst_sel:DWORD dst_unused:UNUSED_PAD src0_sel:BYTE_3 src1_sel:DWORD
	v_lshlrev_b32_e32 v56, 3, v56
	v_cndmask_b32_e32 v97, 7, v97, vcc_lo
	v_and_b32_e32 v56, 0xf8, v56
	v_and_b32_e32 v57, 7, v97
	v_or_b32_e32 v54, v54, v97
	v_or3_b32 v96, v96, v56, v57
	v_cmp_ne_u32_e32 vcc_lo, 0, v54
	v_lshlrev_b32_e32 v96, 8, v96
	v_cndmask_b32_e32 v54, 0, v96, vcc_lo
.LBB2_135:                              ;   in Loop: Header=BB2_84 Depth=2
	s_or_b32 exec_lo, exec_lo, s24
.LBB2_136:                              ;   in Loop: Header=BB2_84 Depth=2
	s_or_b32 exec_lo, exec_lo, s23
	v_alignbit_b32 v86, v86, v87, v85
	s_mov_b32 s11, 0
	v_cmp_gt_i16_sdwa s23, v86, v40 src0_sel:BYTE_0 src1_sel:DWORD
	s_and_saveexec_b32 s24, s23
	s_xor_b32 s23, exec_lo, s24
	s_cbranch_execnz .LBB2_198
; %bb.137:                              ;   in Loop: Header=BB2_84 Depth=2
	s_or_saveexec_b32 s23, s23
	v_mov_b32_e32 v87, 0x7f800001
	s_xor_b32 exec_lo, exec_lo, s23
	s_cbranch_execnz .LBB2_201
.LBB2_138:                              ;   in Loop: Header=BB2_84 Depth=2
	s_or_b32 exec_lo, exec_lo, s23
	s_and_saveexec_b32 s23, s11
	s_cbranch_execz .LBB2_140
.LBB2_139:                              ;   in Loop: Header=BB2_84 Depth=2
	v_and_b32_e32 v87, 7, v86
	v_bfe_u32 v56, v86, 3, 4
	v_lshlrev_b32_e32 v57, 24, v86
	v_ffbh_u32_e32 v96, v87
	v_cmp_eq_u32_e32 vcc_lo, 0, v56
	v_min_u32_e32 v96, 32, v96
	v_subrev_nc_u32_e32 v97, 28, v96
	v_sub_nc_u32_e32 v96, 29, v96
	v_lshlrev_b32_e32 v97, v97, v86
	v_cndmask_b32_e32 v96, v56, v96, vcc_lo
	v_and_b32_e32 v97, 7, v97
	v_lshl_add_u32 v96, v96, 23, 0x3b800000
	v_cndmask_b32_e32 v87, v87, v97, vcc_lo
	v_and_b32_e32 v97, 0x80000000, v57
	v_lshlrev_b32_e32 v87, 20, v87
	v_or3_b32 v87, v97, v96, v87
.LBB2_140:                              ;   in Loop: Header=BB2_84 Depth=2
	s_or_b32 exec_lo, exec_lo, s23
	v_mul_f32_e32 v96, v0, v87
	v_and_b32_e32 v87, 0x7f800000, v96
	v_cmp_ne_u32_e32 vcc_lo, 0x7f800000, v87
	v_mov_b32_e32 v87, 0x80
	s_and_saveexec_b32 s23, vcc_lo
	s_cbranch_execz .LBB2_148
; %bb.141:                              ;   in Loop: Header=BB2_84 Depth=2
	v_mov_b32_e32 v87, 0
	s_mov_b32 s24, exec_lo
	v_cmpx_ne_u32_e32 0, v96
	s_cbranch_execz .LBB2_147
; %bb.142:                              ;   in Loop: Header=BB2_84 Depth=2
	v_bfe_u32 v87, v96, 23, 8
	v_and_b32_e32 v97, 0x7fffff, v96
	v_sub_nc_u32_e32 v56, 0x78, v87
	v_cmp_gt_u32_e32 vcc_lo, 0x79, v87
	v_or_b32_e32 v57, 0x800000, v97
	v_cndmask_b32_e32 v56, 0, v56, vcc_lo
	v_cmp_eq_u32_e32 vcc_lo, 0, v87
	v_add_nc_u32_e32 v87, 0xffffff89, v87
	v_cndmask_b32_e64 v56, v56, 0x77, vcc_lo
	v_cndmask_b32_e32 v97, v57, v97, vcc_lo
	v_cndmask_b32_e64 v87, v87, 0xffffff8a, vcc_lo
	v_lshl_add_u32 v57, 0x100000, v56, -1
	v_lshrrev_b32_e32 v58, v56, v97
	v_lshlrev_b32_e64 v60, v56, 0x80000
	v_add_nc_u32_e32 v56, v56, v87
	v_and_b32_e32 v97, v57, v97
	v_bfe_u32 v59, v58, 20, 1
	v_cmp_eq_u32_e64 s11, v97, v60
	v_add_nc_u32_e32 v57, -1, v59
	v_cndmask_b32_e64 v97, 0, v57, s11
	v_lshrrev_b32_e32 v57, 23, v58
	s_mov_b32 s11, exec_lo
	v_add_nc_u32_e32 v97, v97, v58
	v_xor_b32_e32 v57, 1, v57
	v_and_b32_e32 v87, 0xfffff, v97
	v_add_nc_u32_e32 v97, v87, v58
                                        ; implicit-def: $vgpr87
	v_cmpx_ne_u32_e64 v56, v57
	s_xor_b32 s11, exec_lo, s11
; %bb.143:                              ;   in Loop: Header=BB2_84 Depth=2
	v_cmp_lt_u32_e32 vcc_lo, 0xffffff, v97
	v_sub_nc_u32_e32 v87, v56, v57
	v_cndmask_b32_e64 v56, 0, 1, vcc_lo
	v_add_co_ci_u32_e64 v87, null, 0, v87, vcc_lo
	v_lshrrev_b32_e32 v97, v56, v97
; %bb.144:                              ;   in Loop: Header=BB2_84 Depth=2
	s_andn2_saveexec_b32 s11, s11
; %bb.145:                              ;   in Loop: Header=BB2_84 Depth=2
	v_bfe_u32 v87, v97, 23, 1
; %bb.146:                              ;   in Loop: Header=BB2_84 Depth=2
	s_or_b32 exec_lo, exec_lo, s11
	v_lshrrev_b32_e32 v97, 20, v97
	v_min_i32_e32 v56, 15, v87
	v_cmp_gt_i32_e32 vcc_lo, 16, v87
	v_and_b32_sdwa v96, v96, v41 dst_sel:DWORD dst_unused:UNUSED_PAD src0_sel:BYTE_3 src1_sel:DWORD
	v_lshlrev_b32_e32 v56, 3, v56
	v_cndmask_b32_e32 v97, 7, v97, vcc_lo
	v_and_b32_e32 v56, 0xf8, v56
	v_and_b32_e32 v57, 7, v97
	v_or_b32_e32 v87, v87, v97
	v_or3_b32 v96, v56, v96, v57
	v_cmp_ne_u32_e32 vcc_lo, 0, v87
	v_cndmask_b32_e32 v87, 0, v96, vcc_lo
.LBB2_147:                              ;   in Loop: Header=BB2_84 Depth=2
	s_or_b32 exec_lo, exec_lo, s24
.LBB2_148:                              ;   in Loop: Header=BB2_84 Depth=2
	s_or_b32 exec_lo, exec_lo, s23
	v_cmp_gt_i16_sdwa s23, v86, v40 src0_sel:BYTE_1 src1_sel:DWORD
	s_mov_b32 s11, 0
	s_and_saveexec_b32 s24, s23
	s_xor_b32 s23, exec_lo, s24
	s_cbranch_execnz .LBB2_202
; %bb.149:                              ;   in Loop: Header=BB2_84 Depth=2
	s_or_saveexec_b32 s23, s23
	v_mov_b32_e32 v96, 0x7f800001
	s_xor_b32 exec_lo, exec_lo, s23
	s_cbranch_execnz .LBB2_205
.LBB2_150:                              ;   in Loop: Header=BB2_84 Depth=2
	s_or_b32 exec_lo, exec_lo, s23
	s_and_saveexec_b32 s23, s11
	s_cbranch_execz .LBB2_152
.LBB2_151:                              ;   in Loop: Header=BB2_84 Depth=2
	v_and_b32_sdwa v96, v42, v86 dst_sel:DWORD dst_unused:UNUSED_PAD src0_sel:DWORD src1_sel:BYTE_1
	v_and_b32_e32 v97, 7, v96
	v_bfe_u32 v58, v96, 3, 4
	v_ffbh_u32_e32 v56, v97
	v_cmp_eq_u32_e32 vcc_lo, 0, v58
	v_min_u32_e32 v56, 32, v56
	v_subrev_nc_u32_e32 v57, 28, v56
	v_sub_nc_u32_e32 v56, 29, v56
	v_lshlrev_b32_e32 v96, v57, v96
	v_lshlrev_b32_sdwa v57, v43, v86 dst_sel:DWORD dst_unused:UNUSED_PAD src0_sel:DWORD src1_sel:BYTE_1
	v_cndmask_b32_e32 v56, v58, v56, vcc_lo
	v_and_b32_e32 v96, 7, v96
	v_lshl_add_u32 v56, v56, 23, 0x3b800000
	v_cndmask_b32_e32 v96, v97, v96, vcc_lo
	v_and_b32_e32 v97, 0x80000000, v57
	v_lshlrev_b32_e32 v96, 20, v96
	v_or3_b32 v96, v97, v56, v96
.LBB2_152:                              ;   in Loop: Header=BB2_84 Depth=2
	s_or_b32 exec_lo, exec_lo, s23
	v_mul_f32_e32 v97, v0, v96
	v_and_b32_e32 v96, 0x7f800000, v97
	v_cmp_ne_u32_e32 vcc_lo, 0x7f800000, v96
	v_mov_b32_e32 v96, 0x8000
	s_and_saveexec_b32 s23, vcc_lo
	s_cbranch_execz .LBB2_160
; %bb.153:                              ;   in Loop: Header=BB2_84 Depth=2
	v_mov_b32_e32 v96, 0
	s_mov_b32 s24, exec_lo
	v_cmpx_ne_u32_e32 0, v97
	s_cbranch_execz .LBB2_159
; %bb.154:                              ;   in Loop: Header=BB2_84 Depth=2
	v_bfe_u32 v96, v97, 23, 8
	v_and_b32_e32 v56, 0x7fffff, v97
	v_sub_nc_u32_e32 v57, 0x78, v96
	v_cmp_gt_u32_e32 vcc_lo, 0x79, v96
	v_or_b32_e32 v58, 0x800000, v56
	v_cndmask_b32_e32 v57, 0, v57, vcc_lo
	v_cmp_eq_u32_e32 vcc_lo, 0, v96
	v_add_nc_u32_e32 v96, 0xffffff89, v96
	v_cndmask_b32_e64 v57, v57, 0x77, vcc_lo
	v_cndmask_b32_e32 v56, v58, v56, vcc_lo
	v_cndmask_b32_e64 v96, v96, 0xffffff8a, vcc_lo
	v_lshl_add_u32 v58, 0x100000, v57, -1
	v_lshrrev_b32_e32 v59, v57, v56
	v_lshlrev_b32_e64 v61, v57, 0x80000
	v_add_nc_u32_e32 v57, v57, v96
	v_and_b32_e32 v56, v58, v56
	v_bfe_u32 v60, v59, 20, 1
	v_cmp_eq_u32_e64 s11, v56, v61
	v_add_nc_u32_e32 v58, -1, v60
	v_cndmask_b32_e64 v56, 0, v58, s11
	v_lshrrev_b32_e32 v58, 23, v59
	s_mov_b32 s11, exec_lo
	v_add_nc_u32_e32 v56, v56, v59
	v_xor_b32_e32 v58, 1, v58
	v_and_b32_e32 v96, 0xfffff, v56
	v_add_nc_u32_e32 v56, v96, v59
                                        ; implicit-def: $vgpr96
	v_cmpx_ne_u32_e64 v57, v58
	s_xor_b32 s11, exec_lo, s11
; %bb.155:                              ;   in Loop: Header=BB2_84 Depth=2
	v_cmp_lt_u32_e32 vcc_lo, 0xffffff, v56
	v_sub_nc_u32_e32 v96, v57, v58
	v_cndmask_b32_e64 v57, 0, 1, vcc_lo
	v_add_co_ci_u32_e64 v96, null, 0, v96, vcc_lo
	v_lshrrev_b32_e32 v56, v57, v56
; %bb.156:                              ;   in Loop: Header=BB2_84 Depth=2
	s_andn2_saveexec_b32 s11, s11
; %bb.157:                              ;   in Loop: Header=BB2_84 Depth=2
	v_bfe_u32 v96, v56, 23, 1
; %bb.158:                              ;   in Loop: Header=BB2_84 Depth=2
	s_or_b32 exec_lo, exec_lo, s11
	v_lshrrev_b32_e32 v56, 20, v56
	v_min_i32_e32 v57, 15, v96
	v_cmp_gt_i32_e32 vcc_lo, 16, v96
	v_and_b32_sdwa v97, v97, v41 dst_sel:DWORD dst_unused:UNUSED_PAD src0_sel:BYTE_3 src1_sel:DWORD
	v_lshlrev_b32_e32 v57, 3, v57
	v_cndmask_b32_e32 v56, 7, v56, vcc_lo
	v_and_b32_e32 v57, 0xf8, v57
	v_and_b32_e32 v58, 7, v56
	v_or_b32_e32 v96, v96, v56
	v_or3_b32 v97, v97, v57, v58
	v_cmp_ne_u32_e32 vcc_lo, 0, v96
	v_lshlrev_b32_e32 v97, 8, v97
	v_cndmask_b32_e32 v96, 0, v97, vcc_lo
.LBB2_159:                              ;   in Loop: Header=BB2_84 Depth=2
	s_or_b32 exec_lo, exec_lo, s24
.LBB2_160:                              ;   in Loop: Header=BB2_84 Depth=2
	s_or_b32 exec_lo, exec_lo, s23
	v_and_b32_sdwa v56, v86, v44 dst_sel:DWORD dst_unused:UNUSED_PAD src0_sel:WORD_1 src1_sel:DWORD
	s_mov_b32 s11, 0
	s_mov_b32 s23, exec_lo
	v_cmpx_lt_i16_e32 0x7f, v56
	s_xor_b32 s23, exec_lo, s23
	s_cbranch_execnz .LBB2_206
; %bb.161:                              ;   in Loop: Header=BB2_84 Depth=2
	s_or_saveexec_b32 s23, s23
	v_mov_b32_e32 v97, 0x7f800001
	s_xor_b32 exec_lo, exec_lo, s23
	s_cbranch_execnz .LBB2_209
.LBB2_162:                              ;   in Loop: Header=BB2_84 Depth=2
	s_or_b32 exec_lo, exec_lo, s23
	s_and_saveexec_b32 s23, s11
	s_cbranch_execz .LBB2_164
.LBB2_163:                              ;   in Loop: Header=BB2_84 Depth=2
	v_bfe_u32 v97, v86, 16, 3
	v_bfe_u32 v58, v86, 19, 4
	v_lshlrev_b32_e32 v59, 8, v86
	v_ffbh_u32_e32 v56, v97
	v_cmp_eq_u32_e32 vcc_lo, 0, v58
	v_min_u32_e32 v56, 32, v56
	v_subrev_nc_u32_e32 v57, 28, v56
	v_sub_nc_u32_e32 v56, 29, v56
	v_lshlrev_b32_sdwa v57, v57, v86 dst_sel:DWORD dst_unused:UNUSED_PAD src0_sel:DWORD src1_sel:WORD_1
	v_cndmask_b32_e32 v56, v58, v56, vcc_lo
	v_and_b32_e32 v57, 7, v57
	v_lshl_add_u32 v56, v56, 23, 0x3b800000
	v_cndmask_b32_e32 v97, v97, v57, vcc_lo
	v_and_b32_e32 v57, 0x80000000, v59
	v_lshlrev_b32_e32 v97, 20, v97
	v_or3_b32 v97, v57, v56, v97
.LBB2_164:                              ;   in Loop: Header=BB2_84 Depth=2
	s_or_b32 exec_lo, exec_lo, s23
	v_mul_f32_e32 v56, v0, v97
	v_and_b32_e32 v97, 0x7f800000, v56
	v_cmp_ne_u32_e32 vcc_lo, 0x7f800000, v97
	v_mov_b32_e32 v97, 0x80
	s_and_saveexec_b32 s23, vcc_lo
	s_cbranch_execz .LBB2_172
; %bb.165:                              ;   in Loop: Header=BB2_84 Depth=2
	v_mov_b32_e32 v97, 0
	s_mov_b32 s24, exec_lo
	v_cmpx_ne_u32_e32 0, v56
	s_cbranch_execz .LBB2_171
; %bb.166:                              ;   in Loop: Header=BB2_84 Depth=2
	v_bfe_u32 v97, v56, 23, 8
	v_and_b32_e32 v57, 0x7fffff, v56
	v_sub_nc_u32_e32 v58, 0x78, v97
	v_cmp_gt_u32_e32 vcc_lo, 0x79, v97
	v_or_b32_e32 v59, 0x800000, v57
	v_cndmask_b32_e32 v58, 0, v58, vcc_lo
	v_cmp_eq_u32_e32 vcc_lo, 0, v97
	v_add_nc_u32_e32 v97, 0xffffff89, v97
	v_cndmask_b32_e64 v58, v58, 0x77, vcc_lo
	v_cndmask_b32_e32 v57, v59, v57, vcc_lo
	v_cndmask_b32_e64 v97, v97, 0xffffff8a, vcc_lo
	v_lshl_add_u32 v59, 0x100000, v58, -1
	v_lshrrev_b32_e32 v60, v58, v57
	v_lshlrev_b32_e64 v62, v58, 0x80000
	v_add_nc_u32_e32 v58, v58, v97
	v_and_b32_e32 v57, v59, v57
	v_bfe_u32 v61, v60, 20, 1
	v_cmp_eq_u32_e64 s11, v57, v62
	v_add_nc_u32_e32 v59, -1, v61
	v_cndmask_b32_e64 v57, 0, v59, s11
	v_lshrrev_b32_e32 v59, 23, v60
	s_mov_b32 s11, exec_lo
	v_add_nc_u32_e32 v57, v57, v60
	v_xor_b32_e32 v59, 1, v59
	v_and_b32_e32 v97, 0xfffff, v57
	v_add_nc_u32_e32 v57, v97, v60
                                        ; implicit-def: $vgpr97
	v_cmpx_ne_u32_e64 v58, v59
	s_xor_b32 s11, exec_lo, s11
; %bb.167:                              ;   in Loop: Header=BB2_84 Depth=2
	v_cmp_lt_u32_e32 vcc_lo, 0xffffff, v57
	v_sub_nc_u32_e32 v97, v58, v59
	v_cndmask_b32_e64 v58, 0, 1, vcc_lo
	v_add_co_ci_u32_e64 v97, null, 0, v97, vcc_lo
	v_lshrrev_b32_e32 v57, v58, v57
; %bb.168:                              ;   in Loop: Header=BB2_84 Depth=2
	s_andn2_saveexec_b32 s11, s11
; %bb.169:                              ;   in Loop: Header=BB2_84 Depth=2
	v_bfe_u32 v97, v57, 23, 1
; %bb.170:                              ;   in Loop: Header=BB2_84 Depth=2
	s_or_b32 exec_lo, exec_lo, s11
	v_lshrrev_b32_e32 v57, 20, v57
	v_min_i32_e32 v58, 15, v97
	v_cmp_gt_i32_e32 vcc_lo, 16, v97
	v_and_b32_sdwa v56, v56, v41 dst_sel:DWORD dst_unused:UNUSED_PAD src0_sel:BYTE_3 src1_sel:DWORD
	v_lshlrev_b32_e32 v58, 3, v58
	v_cndmask_b32_e32 v57, 7, v57, vcc_lo
	v_and_b32_e32 v58, 0xf8, v58
	v_and_b32_e32 v59, 7, v57
	v_or_b32_e32 v97, v97, v57
	v_or3_b32 v56, v58, v56, v59
	v_cmp_ne_u32_e32 vcc_lo, 0, v97
	v_cndmask_b32_e32 v97, 0, v56, vcc_lo
.LBB2_171:                              ;   in Loop: Header=BB2_84 Depth=2
	s_or_b32 exec_lo, exec_lo, s24
.LBB2_172:                              ;   in Loop: Header=BB2_84 Depth=2
	s_or_b32 exec_lo, exec_lo, s23
	v_cmp_gt_i16_sdwa s23, v86, v40 src0_sel:BYTE_3 src1_sel:DWORD
	s_mov_b32 s11, 0
	s_and_saveexec_b32 s24, s23
	s_xor_b32 s23, exec_lo, s24
	s_cbranch_execnz .LBB2_210
; %bb.173:                              ;   in Loop: Header=BB2_84 Depth=2
	s_or_saveexec_b32 s23, s23
	v_mov_b32_e32 v56, 0x7f800001
	s_xor_b32 exec_lo, exec_lo, s23
	s_cbranch_execnz .LBB2_213
.LBB2_174:                              ;   in Loop: Header=BB2_84 Depth=2
	s_or_b32 exec_lo, exec_lo, s23
	s_and_saveexec_b32 s23, s11
	s_cbranch_execz .LBB2_176
.LBB2_175:                              ;   in Loop: Header=BB2_84 Depth=2
	v_bfe_u32 v56, v86, 24, 3
	v_bfe_u32 v59, v86, 27, 4
	v_ffbh_u32_e32 v57, v56
	v_cmp_eq_u32_e32 vcc_lo, 0, v59
	v_min_u32_e32 v57, 32, v57
	v_subrev_nc_u32_e32 v58, 28, v57
	v_sub_nc_u32_e32 v57, 29, v57
	v_lshlrev_b32_sdwa v58, v58, v86 dst_sel:DWORD dst_unused:UNUSED_PAD src0_sel:DWORD src1_sel:BYTE_3
	v_cndmask_b32_e32 v57, v59, v57, vcc_lo
	v_and_b32_e32 v86, 0x80000000, v86
	v_and_b32_e32 v58, 7, v58
	v_lshl_add_u32 v57, v57, 23, 0x3b800000
	v_cndmask_b32_e32 v56, v56, v58, vcc_lo
	v_lshlrev_b32_e32 v56, 20, v56
	v_or3_b32 v56, v86, v57, v56
.LBB2_176:                              ;   in Loop: Header=BB2_84 Depth=2
	s_or_b32 exec_lo, exec_lo, s23
	v_mul_f32_e32 v86, v0, v56
	v_and_b32_e32 v56, 0x7f800000, v86
	v_cmp_ne_u32_e32 vcc_lo, 0x7f800000, v56
	v_mov_b32_e32 v56, 0x8000
	s_and_saveexec_b32 s23, vcc_lo
	s_cbranch_execz .LBB2_83
; %bb.177:                              ;   in Loop: Header=BB2_84 Depth=2
	v_mov_b32_e32 v56, 0
	s_mov_b32 s24, exec_lo
	v_cmpx_ne_u32_e32 0, v86
	s_cbranch_execz .LBB2_82
; %bb.178:                              ;   in Loop: Header=BB2_84 Depth=2
	v_bfe_u32 v56, v86, 23, 8
	v_and_b32_e32 v57, 0x7fffff, v86
	v_sub_nc_u32_e32 v58, 0x78, v56
	v_cmp_gt_u32_e32 vcc_lo, 0x79, v56
	v_or_b32_e32 v59, 0x800000, v57
	v_cndmask_b32_e32 v58, 0, v58, vcc_lo
	v_cmp_eq_u32_e32 vcc_lo, 0, v56
	v_add_nc_u32_e32 v56, 0xffffff89, v56
	v_cndmask_b32_e64 v58, v58, 0x77, vcc_lo
	v_cndmask_b32_e32 v57, v59, v57, vcc_lo
	v_cndmask_b32_e64 v56, v56, 0xffffff8a, vcc_lo
	v_lshl_add_u32 v59, 0x100000, v58, -1
	v_lshrrev_b32_e32 v60, v58, v57
	v_lshlrev_b32_e64 v62, v58, 0x80000
	v_add_nc_u32_e32 v58, v58, v56
	v_and_b32_e32 v57, v59, v57
	v_bfe_u32 v61, v60, 20, 1
	v_cmp_eq_u32_e64 s11, v57, v62
	v_add_nc_u32_e32 v59, -1, v61
	v_cndmask_b32_e64 v57, 0, v59, s11
	v_lshrrev_b32_e32 v59, 23, v60
	s_mov_b32 s11, exec_lo
	v_add_nc_u32_e32 v57, v57, v60
	v_xor_b32_e32 v59, 1, v59
	v_and_b32_e32 v56, 0xfffff, v57
	v_add_nc_u32_e32 v57, v56, v60
                                        ; implicit-def: $vgpr56
	v_cmpx_ne_u32_e64 v58, v59
	s_xor_b32 s11, exec_lo, s11
; %bb.179:                              ;   in Loop: Header=BB2_84 Depth=2
	v_cmp_lt_u32_e32 vcc_lo, 0xffffff, v57
	v_sub_nc_u32_e32 v56, v58, v59
	v_cndmask_b32_e64 v58, 0, 1, vcc_lo
	v_add_co_ci_u32_e64 v56, null, 0, v56, vcc_lo
	v_lshrrev_b32_e32 v57, v58, v57
; %bb.180:                              ;   in Loop: Header=BB2_84 Depth=2
	s_andn2_saveexec_b32 s11, s11
	s_cbranch_execz .LBB2_81
; %bb.181:                              ;   in Loop: Header=BB2_84 Depth=2
	v_bfe_u32 v56, v57, 23, 1
	s_branch .LBB2_81
.LBB2_182:                              ;   in Loop: Header=BB2_84 Depth=2
	v_cmp_eq_u16_sdwa s25, v54, v41 src0_sel:BYTE_0 src1_sel:DWORD
	s_mov_b32 s11, -1
	s_and_saveexec_b32 s24, s25
; %bb.183:                              ;   in Loop: Header=BB2_84 Depth=2
	s_xor_b32 s11, exec_lo, -1
; %bb.184:                              ;   in Loop: Header=BB2_84 Depth=2
	s_or_b32 exec_lo, exec_lo, s24
	s_and_b32 s11, s11, exec_lo
	s_or_saveexec_b32 s23, s23
	v_mov_b32_e32 v17, 0x7f800001
	s_xor_b32 exec_lo, exec_lo, s23
	s_cbranch_execz .LBB2_90
.LBB2_185:                              ;   in Loop: Header=BB2_84 Depth=2
	v_cmp_ne_u16_sdwa s24, v54, v55 src0_sel:BYTE_0 src1_sel:DWORD
	v_mov_b32_e32 v17, 0
	s_andn2_b32 s11, s11, exec_lo
	s_and_b32 s24, s24, exec_lo
	s_or_b32 s11, s11, s24
	s_or_b32 exec_lo, exec_lo, s23
	s_and_saveexec_b32 s23, s11
	s_cbranch_execnz .LBB2_91
	s_branch .LBB2_92
.LBB2_186:                              ;   in Loop: Header=BB2_84 Depth=2
	v_cmp_eq_u16_sdwa s25, v54, v41 src0_sel:BYTE_1 src1_sel:DWORD
	s_mov_b32 s11, -1
	s_and_saveexec_b32 s24, s25
; %bb.187:                              ;   in Loop: Header=BB2_84 Depth=2
	s_xor_b32 s11, exec_lo, -1
; %bb.188:                              ;   in Loop: Header=BB2_84 Depth=2
	s_or_b32 exec_lo, exec_lo, s24
	s_and_b32 s11, s11, exec_lo
	s_or_saveexec_b32 s23, s23
	v_mov_b32_e32 v19, 0x7f800001
	s_xor_b32 exec_lo, exec_lo, s23
	s_cbranch_execz .LBB2_102
.LBB2_189:                              ;   in Loop: Header=BB2_84 Depth=2
	v_cmp_ne_u16_sdwa s24, v54, v55 src0_sel:BYTE_1 src1_sel:DWORD
	v_mov_b32_e32 v19, 0
	s_andn2_b32 s11, s11, exec_lo
	s_and_b32 s24, s24, exec_lo
	s_or_b32 s11, s11, s24
	s_or_b32 exec_lo, exec_lo, s23
	s_and_saveexec_b32 s23, s11
	s_cbranch_execnz .LBB2_103
	s_branch .LBB2_104
.LBB2_190:                              ;   in Loop: Header=BB2_84 Depth=2
	s_mov_b32 s11, -1
	s_mov_b32 s24, exec_lo
	v_cmpx_eq_u16_e32 0x80, v96
; %bb.191:                              ;   in Loop: Header=BB2_84 Depth=2
	s_xor_b32 s11, exec_lo, -1
; %bb.192:                              ;   in Loop: Header=BB2_84 Depth=2
	s_or_b32 exec_lo, exec_lo, s24
	s_and_b32 s11, s11, exec_lo
                                        ; implicit-def: $vgpr96
	s_or_saveexec_b32 s23, s23
	v_mov_b32_e32 v20, 0x7f800001
	s_xor_b32 exec_lo, exec_lo, s23
	s_cbranch_execz .LBB2_114
.LBB2_193:                              ;   in Loop: Header=BB2_84 Depth=2
	v_cmp_ne_u16_e32 vcc_lo, 0, v96
	v_mov_b32_e32 v20, 0
	s_andn2_b32 s11, s11, exec_lo
	s_and_b32 s24, vcc_lo, exec_lo
	s_or_b32 s11, s11, s24
	s_or_b32 exec_lo, exec_lo, s23
	s_and_saveexec_b32 s23, s11
	s_cbranch_execnz .LBB2_115
	s_branch .LBB2_116
.LBB2_194:                              ;   in Loop: Header=BB2_84 Depth=2
	v_cmp_eq_u16_sdwa s25, v54, v41 src0_sel:BYTE_3 src1_sel:DWORD
	s_mov_b32 s11, -1
	s_and_saveexec_b32 s24, s25
; %bb.195:                              ;   in Loop: Header=BB2_84 Depth=2
	s_xor_b32 s11, exec_lo, -1
; %bb.196:                              ;   in Loop: Header=BB2_84 Depth=2
	s_or_b32 exec_lo, exec_lo, s24
	s_and_b32 s11, s11, exec_lo
	s_or_saveexec_b32 s23, s23
	v_mov_b32_e32 v96, 0x7f800001
	s_xor_b32 exec_lo, exec_lo, s23
	s_cbranch_execz .LBB2_126
.LBB2_197:                              ;   in Loop: Header=BB2_84 Depth=2
	v_cmp_ne_u16_sdwa s24, v54, v55 src0_sel:BYTE_3 src1_sel:DWORD
	v_mov_b32_e32 v96, 0
	s_andn2_b32 s11, s11, exec_lo
	s_and_b32 s24, s24, exec_lo
	s_or_b32 s11, s11, s24
	s_or_b32 exec_lo, exec_lo, s23
	s_and_saveexec_b32 s23, s11
	s_cbranch_execnz .LBB2_127
	s_branch .LBB2_128
.LBB2_198:                              ;   in Loop: Header=BB2_84 Depth=2
	v_cmp_eq_u16_sdwa s25, v86, v41 src0_sel:BYTE_0 src1_sel:DWORD
	s_mov_b32 s11, -1
	s_and_saveexec_b32 s24, s25
; %bb.199:                              ;   in Loop: Header=BB2_84 Depth=2
	s_xor_b32 s11, exec_lo, -1
; %bb.200:                              ;   in Loop: Header=BB2_84 Depth=2
	s_or_b32 exec_lo, exec_lo, s24
	s_and_b32 s11, s11, exec_lo
	s_or_saveexec_b32 s23, s23
	v_mov_b32_e32 v87, 0x7f800001
	s_xor_b32 exec_lo, exec_lo, s23
	s_cbranch_execz .LBB2_138
.LBB2_201:                              ;   in Loop: Header=BB2_84 Depth=2
	v_cmp_ne_u16_sdwa s24, v86, v55 src0_sel:BYTE_0 src1_sel:DWORD
	v_mov_b32_e32 v87, 0
	s_andn2_b32 s11, s11, exec_lo
	s_and_b32 s24, s24, exec_lo
	s_or_b32 s11, s11, s24
	s_or_b32 exec_lo, exec_lo, s23
	s_and_saveexec_b32 s23, s11
	s_cbranch_execnz .LBB2_139
	s_branch .LBB2_140
.LBB2_202:                              ;   in Loop: Header=BB2_84 Depth=2
	v_cmp_eq_u16_sdwa s25, v86, v41 src0_sel:BYTE_1 src1_sel:DWORD
	s_mov_b32 s11, -1
	s_and_saveexec_b32 s24, s25
; %bb.203:                              ;   in Loop: Header=BB2_84 Depth=2
	s_xor_b32 s11, exec_lo, -1
; %bb.204:                              ;   in Loop: Header=BB2_84 Depth=2
	s_or_b32 exec_lo, exec_lo, s24
	s_and_b32 s11, s11, exec_lo
	s_or_saveexec_b32 s23, s23
	v_mov_b32_e32 v96, 0x7f800001
	s_xor_b32 exec_lo, exec_lo, s23
	s_cbranch_execz .LBB2_150
.LBB2_205:                              ;   in Loop: Header=BB2_84 Depth=2
	v_cmp_ne_u16_sdwa s24, v86, v55 src0_sel:BYTE_1 src1_sel:DWORD
	v_mov_b32_e32 v96, 0
	s_andn2_b32 s11, s11, exec_lo
	s_and_b32 s24, s24, exec_lo
	s_or_b32 s11, s11, s24
	s_or_b32 exec_lo, exec_lo, s23
	s_and_saveexec_b32 s23, s11
	s_cbranch_execnz .LBB2_151
	s_branch .LBB2_152
.LBB2_206:                              ;   in Loop: Header=BB2_84 Depth=2
	s_mov_b32 s11, -1
	s_mov_b32 s24, exec_lo
	v_cmpx_eq_u16_e32 0x80, v56
; %bb.207:                              ;   in Loop: Header=BB2_84 Depth=2
	s_xor_b32 s11, exec_lo, -1
; %bb.208:                              ;   in Loop: Header=BB2_84 Depth=2
	s_or_b32 exec_lo, exec_lo, s24
	s_and_b32 s11, s11, exec_lo
                                        ; implicit-def: $vgpr56
	s_or_saveexec_b32 s23, s23
	v_mov_b32_e32 v97, 0x7f800001
	s_xor_b32 exec_lo, exec_lo, s23
	s_cbranch_execz .LBB2_162
.LBB2_209:                              ;   in Loop: Header=BB2_84 Depth=2
	v_cmp_ne_u16_e32 vcc_lo, 0, v56
	v_mov_b32_e32 v97, 0
	s_andn2_b32 s11, s11, exec_lo
	s_and_b32 s24, vcc_lo, exec_lo
	s_or_b32 s11, s11, s24
	s_or_b32 exec_lo, exec_lo, s23
	s_and_saveexec_b32 s23, s11
	s_cbranch_execnz .LBB2_163
	s_branch .LBB2_164
.LBB2_210:                              ;   in Loop: Header=BB2_84 Depth=2
	v_cmp_eq_u16_sdwa s25, v86, v41 src0_sel:BYTE_3 src1_sel:DWORD
	s_mov_b32 s11, -1
	s_and_saveexec_b32 s24, s25
; %bb.211:                              ;   in Loop: Header=BB2_84 Depth=2
	s_xor_b32 s11, exec_lo, -1
; %bb.212:                              ;   in Loop: Header=BB2_84 Depth=2
	s_or_b32 exec_lo, exec_lo, s24
	s_and_b32 s11, s11, exec_lo
	s_or_saveexec_b32 s23, s23
	v_mov_b32_e32 v56, 0x7f800001
	s_xor_b32 exec_lo, exec_lo, s23
	s_cbranch_execz .LBB2_174
.LBB2_213:                              ;   in Loop: Header=BB2_84 Depth=2
	v_cmp_ne_u16_sdwa s24, v86, v55 src0_sel:BYTE_3 src1_sel:DWORD
	v_mov_b32_e32 v56, 0
	s_andn2_b32 s11, s11, exec_lo
	s_and_b32 s24, s24, exec_lo
	s_or_b32 s11, s11, s24
	s_or_b32 exec_lo, exec_lo, s23
	s_and_saveexec_b32 s23, s11
	s_cbranch_execnz .LBB2_175
	s_branch .LBB2_176
.LBB2_214:                              ;   in Loop: Header=BB2_44 Depth=1
	s_or_b32 exec_lo, exec_lo, s22
.LBB2_215:                              ;   in Loop: Header=BB2_44 Depth=1
	s_or_b32 exec_lo, exec_lo, s12
	v_and_b32_e32 v54, 0x7ffffff8, v21
	v_cmp_gt_i32_e64 s11, s18, v70
	v_cmp_eq_u64_e32 vcc_lo, 0x7ffffff8, v[54:55]
	s_and_b32 s11, vcc_lo, s11
	s_and_saveexec_b32 s12, s11
	s_cbranch_execz .LBB2_218
; %bb.216:                              ;   in Loop: Header=BB2_44 Depth=1
	s_waitcnt vmcnt(0) lgkmcnt(0)
	v_mul_lo_u32 v19, v71, s18
	v_ashrrev_i32_e32 v71, 31, v70
	v_mov_b32_e32 v17, v55
	s_mov_b32 s22, 0
	v_lshlrev_b64 v[80:81], 4, v[70:71]
	v_ashrrev_i32_e32 v20, 31, v19
	v_lshlrev_b64 v[19:20], 4, v[19:20]
	v_add_co_u32 v19, vcc_lo, v80, v19
	v_add_co_ci_u32_e64 v20, null, v81, v20, vcc_lo
	v_add_co_u32 v80, vcc_lo, v36, v19
	v_add_co_ci_u32_e64 v81, null, v37, v20, vcc_lo
.LBB2_217:                              ;   Parent Loop BB2_44 Depth=1
                                        ; =>  This Inner Loop Header: Depth=2
	v_mov_b32_e32 v19, v17
	v_add_nc_u32_e32 v70, v70, v1
	v_mov_b32_e32 v20, v18
	v_cmp_le_i32_e32 vcc_lo, s18, v70
	global_store_dwordx4 v[80:81], v[17:20], off
	v_add_co_u32 v80, s11, v80, v9
	v_add_co_ci_u32_e64 v81, null, v81, v10, s11
	s_or_b32 s22, vcc_lo, s22
	s_andn2_b32 exec_lo, exec_lo, s22
	s_cbranch_execnz .LBB2_217
.LBB2_218:                              ;   in Loop: Header=BB2_44 Depth=1
	s_or_b32 exec_lo, exec_lo, s12
	v_add_co_u32 v56, vcc_lo, v68, v25
	v_add_co_ci_u32_e64 v57, null, v69, v26, vcc_lo
	v_add_co_u32 v70, vcc_lo, v21, 1
	v_add_co_ci_u32_e64 v71, null, 0, v22, vcc_lo
	s_andn2_b32 vcc_lo, exec_lo, s21
	s_cbranch_vccnz .LBB2_620
; %bb.219:                              ;   in Loop: Header=BB2_44 Depth=1
	v_add_co_u32 v80, vcc_lo, v112, v56
	v_add_co_ci_u32_e64 v81, null, v113, v57, vcc_lo
	v_add_nc_u16 v58, v21, 1
	s_mov_b32 s22, 2
	s_branch .LBB2_221
.LBB2_220:                              ;   in Loop: Header=BB2_221 Depth=2
	s_or_b32 exec_lo, exec_lo, s12
	v_add_co_u32 v34, vcc_lo, v34, 1
	v_add_co_ci_u32_e64 v35, null, 0, v35, vcc_lo
	v_add_co_u32 v70, vcc_lo, v70, 1
	v_add_co_ci_u32_e64 v71, null, 0, v71, vcc_lo
	v_add_nc_u16 v58, v58, 1
	s_add_i32 s22, s22, 1
	s_cmp_eq_u32 s22, s14
	s_cbranch_scc1 .LBB2_620
.LBB2_221:                              ;   Parent Loop BB2_44 Depth=1
                                        ; =>  This Loop Header: Depth=2
                                        ;       Child Loop BB2_226 Depth 3
                                        ;       Child Loop BB2_245 Depth 3
	;; [unrolled: 1-line block ×3, first 2 shown]
                                        ;         Child Loop BB2_275 Depth 4
                                        ;       Child Loop BB2_609 Depth 3
                                        ;       Child Loop BB2_262 Depth 3
	s_sub_i32 s12, s14, s22
	s_lshl_b64 s[24:25], s[12:13], 2
	v_add_co_u32 v17, vcc_lo, v23, s24
	v_add_co_ci_u32_e64 v18, null, s25, v24, vcc_lo
	s_waitcnt vmcnt(0) lgkmcnt(0)
	flat_load_dword v19, v[17:18]
	s_and_saveexec_b32 s12, s5
	s_cbranch_execz .LBB2_237
; %bb.222:                              ;   in Loop: Header=BB2_221 Depth=2
	v_add_co_u32 v17, vcc_lo, v15, 1
	v_add_co_ci_u32_e64 v18, null, 0, v16, vcc_lo
	v_add_co_u32 v20, vcc_lo, v52, 8
	v_add_co_ci_u32_e64 v21, null, 0, v53, vcc_lo
	s_mov_b32 s23, exec_lo
	v_cmpx_lt_u64_e64 v[20:21], v[17:18]
	s_cbranch_execz .LBB2_234
; %bb.223:                              ;   in Loop: Header=BB2_221 Depth=2
	s_mov_b32 s24, 0
	s_mov_b32 s28, 0
	v_cmp_eq_u32_e32 vcc_lo, 0, v45
                                        ; implicit-def: $sgpr25
                                        ; implicit-def: $sgpr26
                                        ; implicit-def: $sgpr27
	s_branch .LBB2_226
.LBB2_224:                              ;   in Loop: Header=BB2_226 Depth=3
	s_or_b32 exec_lo, exec_lo, s43
	s_andn2_b32 s11, s27, exec_lo
	s_and_b32 s27, s41, exec_lo
	s_andn2_b32 s26, s26, exec_lo
	s_and_b32 s40, s40, exec_lo
	s_or_b32 s27, s11, s27
	s_or_b32 s26, s26, s40
.LBB2_225:                              ;   in Loop: Header=BB2_226 Depth=3
	s_or_b32 exec_lo, exec_lo, s29
	s_and_b32 s11, exec_lo, s26
	s_or_b32 s24, s11, s24
	s_andn2_b32 s11, s25, exec_lo
	s_and_b32 s25, s27, exec_lo
	s_or_b32 s25, s11, s25
	s_andn2_b32 exec_lo, exec_lo, s24
	s_cbranch_execz .LBB2_231
.LBB2_226:                              ;   Parent Loop BB2_44 Depth=1
                                        ;     Parent Loop BB2_221 Depth=2
                                        ; =>    This Inner Loop Header: Depth=3
	s_sleep 1
	s_waitcnt vmcnt(0) lgkmcnt(0)
	flat_load_dwordx2 v[52:53], v[50:51] glc dlc
	v_mov_b32_e32 v45, 1
	s_or_b32 s27, s27, exec_lo
	s_or_b32 s26, s26, exec_lo
                                        ; implicit-def: $vgpr16
	s_and_saveexec_b32 s29, vcc_lo
	s_cbranch_execz .LBB2_225
; %bb.227:                              ;   in Loop: Header=BB2_226 Depth=3
	s_add_i32 s28, s28, 1
	s_mov_b32 s40, -1
	s_cmpk_lg_i32 s28, 0x2710
	s_mov_b32 s41, -1
	s_cselect_b32 s42, -1, 0
	s_cmpk_eq_i32 s28, 0x2710
                                        ; implicit-def: $vgpr16
	s_cbranch_scc1 .LBB2_229
; %bb.228:                              ;   in Loop: Header=BB2_226 Depth=3
	v_mov_b32_e32 v45, 1
	s_and_saveexec_b32 s43, s42
	s_cbranch_execz .LBB2_224
	s_branch .LBB2_230
.LBB2_229:                              ;   in Loop: Header=BB2_226 Depth=3
	s_trap 2
	ds_read_b64 v[20:21], v0
	s_andn2_b32 s28, s42, exec_lo
	s_mov_b32 s41, 0
	s_waitcnt vmcnt(0) lgkmcnt(0)
	s_waitcnt_vscnt null, 0x0
	flat_load_dword v16, v[20:21] glc dlc
	s_waitcnt vmcnt(0) lgkmcnt(0)
	buffer_gl1_inv
	buffer_gl0_inv
	v_cmp_eq_u32_e64 s11, 0, v16
	s_and_b32 s11, s11, exec_lo
	s_or_b32 s42, s28, s11
	s_mov_b32 s28, 0
	v_mov_b32_e32 v45, 1
	s_and_saveexec_b32 s43, s42
	s_cbranch_execz .LBB2_224
.LBB2_230:                              ;   in Loop: Header=BB2_226 Depth=3
	s_waitcnt vmcnt(0) lgkmcnt(0)
	v_add_co_u32 v20, s11, v52, 8
	v_add_co_ci_u32_e64 v21, null, 0, v53, s11
	v_mov_b32_e32 v45, 0
	s_or_b32 s41, s41, exec_lo
	v_cmp_ge_u64_e64 s11, v[20:21], v[17:18]
	s_orn2_b32 s40, s11, exec_lo
	s_branch .LBB2_224
.LBB2_231:                              ;   in Loop: Header=BB2_221 Depth=2
	s_or_b32 exec_lo, exec_lo, s24
	s_xor_b32 s11, s25, -1
	s_and_saveexec_b32 s24, s11
	s_xor_b32 s11, exec_lo, s24
	s_cbranch_execz .LBB2_233
; %bb.232:                              ;   in Loop: Header=BB2_221 Depth=2
	v_mov_b32_e32 v45, 1
	s_waitcnt vmcnt(0) lgkmcnt(0)
	s_waitcnt_vscnt null, 0x0
	ds_write_b32 v0, v16
	s_trap 2
.LBB2_233:                              ;   in Loop: Header=BB2_221 Depth=2
	s_or_b32 exec_lo, exec_lo, s11
.LBB2_234:                              ;   in Loop: Header=BB2_221 Depth=2
	s_or_b32 exec_lo, exec_lo, s23
	s_and_saveexec_b32 s11, s6
	s_cbranch_execz .LBB2_236
; %bb.235:                              ;   in Loop: Header=BB2_221 Depth=2
	v_and_b32_e32 v54, 0x7ffffff8, v15
	v_and_b32_e32 v16, 7, v15
	v_cmp_eq_u64_e32 vcc_lo, 0x7ffffff8, v[54:55]
	v_mad_u64_u32 v[20:21], null, v16, 24, v[13:14]
	v_cndmask_b32_e64 v15, v47, s15, vcc_lo
	v_ashrrev_i32_e32 v16, 31, v15
	flat_store_dwordx2 v[20:21], v[15:16] offset:8
	s_waitcnt_vscnt null, 0x0
.LBB2_236:                              ;   in Loop: Header=BB2_221 Depth=2
	s_or_b32 exec_lo, exec_lo, s11
	v_mov_b32_e32 v15, v17
	v_mov_b32_e32 v16, v18
.LBB2_237:                              ;   in Loop: Header=BB2_221 Depth=2
	s_or_b32 exec_lo, exec_lo, s12
	s_and_saveexec_b32 s11, s7
	s_cbranch_execz .LBB2_256
; %bb.238:                              ;   in Loop: Header=BB2_221 Depth=2
	s_and_saveexec_b32 s12, s19
	s_xor_b32 s12, exec_lo, s12
	s_cbranch_execz .LBB2_253
; %bb.239:                              ;   in Loop: Header=BB2_221 Depth=2
	s_and_saveexec_b32 s23, s8
	s_cbranch_execz .LBB2_252
; %bb.240:                              ;   in Loop: Header=BB2_221 Depth=2
	s_mov_b32 s25, exec_lo
	s_mov_b32 s24, exec_lo
	v_mbcnt_lo_u32_b32 v17, s25, 0
	s_waitcnt vmcnt(0) lgkmcnt(0)
	s_waitcnt_vscnt null, 0x0
	buffer_gl1_inv
	buffer_gl0_inv
	v_cmpx_eq_u32_e32 0, v17
	s_cbranch_execz .LBB2_242
; %bb.241:                              ;   in Loop: Header=BB2_221 Depth=2
	s_bcnt1_i32_b32 s25, s25
	v_mov_b32_e32 v54, s25
	ds_add_u64 v0, v[54:55]
	s_trap 2
.LBB2_242:                              ;   in Loop: Header=BB2_221 Depth=2
	s_or_b32 exec_lo, exec_lo, s24
	s_trap 2
	ds_read_b64 v[17:18], v0
	s_waitcnt lgkmcnt(0)
	buffer_gl0_inv
	v_add_co_u32 v2, vcc_lo, v2, v102
	v_add_co_ci_u32_e64 v3, null, 0, v3, vcc_lo
	s_mov_b32 s24, exec_lo
	v_cmpx_lt_u64_e64 v[17:18], v[2:3]
	s_cbranch_execz .LBB2_251
; %bb.243:                              ;   in Loop: Header=BB2_221 Depth=2
	s_mov_b32 s25, 0
	s_mov_b32 s28, 0
                                        ; implicit-def: $sgpr26
                                        ; implicit-def: $sgpr27
	s_inst_prefetch 0x1
	s_branch .LBB2_245
	.p2align	6
.LBB2_244:                              ;   in Loop: Header=BB2_245 Depth=3
	s_or_b32 exec_lo, exec_lo, s40
	s_and_b32 s29, exec_lo, s41
	s_or_b32 s25, s29, s25
	s_andn2_b32 s26, s26, exec_lo
	s_and_b32 s29, s27, exec_lo
	s_or_b32 s26, s26, s29
	s_andn2_b32 exec_lo, exec_lo, s25
	s_cbranch_execz .LBB2_249
.LBB2_245:                              ;   Parent Loop BB2_44 Depth=1
                                        ;     Parent Loop BB2_221 Depth=2
                                        ; =>    This Inner Loop Header: Depth=3
	s_add_i32 s28, s28, 1
	s_cmpk_lg_i32 s28, 0x2710
	s_cselect_b32 s29, -1, 0
	s_and_b32 vcc_lo, exec_lo, s29
	s_cbranch_vccz .LBB2_247
; %bb.246:                              ;   in Loop: Header=BB2_245 Depth=3
	s_mov_b32 s41, -1
	s_or_b32 s27, s27, exec_lo
	s_and_saveexec_b32 s40, s29
	s_cbranch_execz .LBB2_244
	s_branch .LBB2_248
	.p2align	6
.LBB2_247:                              ;   in Loop: Header=BB2_245 Depth=3
	s_trap 2
	ds_read_b64 v[17:18], v0
	s_andn2_b32 s29, s29, exec_lo
	s_mov_b32 s28, 0
	s_waitcnt lgkmcnt(0)
	flat_load_dword v17, v[17:18] glc dlc
	s_waitcnt vmcnt(0) lgkmcnt(0)
	buffer_gl1_inv
	buffer_gl0_inv
	v_cmp_eq_u32_e32 vcc_lo, 0, v17
	s_and_b32 s40, vcc_lo, exec_lo
	s_or_b32 s29, s29, s40
	s_mov_b32 s41, -1
	s_or_b32 s27, s27, exec_lo
	s_and_saveexec_b32 s40, s29
	s_cbranch_execz .LBB2_244
.LBB2_248:                              ;   in Loop: Header=BB2_245 Depth=3
	s_sleep 1
	s_trap 2
	ds_read_b64 v[17:18], v0
	s_waitcnt lgkmcnt(0)
	buffer_gl0_inv
	s_andn2_b32 s27, s27, exec_lo
	v_cmp_ge_u64_e32 vcc_lo, v[17:18], v[2:3]
	s_orn2_b32 s41, vcc_lo, exec_lo
	s_branch .LBB2_244
.LBB2_249:                              ;   in Loop: Header=BB2_221 Depth=2
	s_inst_prefetch 0x2
	s_or_b32 exec_lo, exec_lo, s25
	s_and_saveexec_b32 s25, s26
	s_xor_b32 s25, exec_lo, s25
	s_cbranch_execz .LBB2_251
; %bb.250:                              ;   in Loop: Header=BB2_221 Depth=2
	ds_write_b32 v0, v119
	s_trap 2
.LBB2_251:                              ;   in Loop: Header=BB2_221 Depth=2
	s_or_b32 exec_lo, exec_lo, s24
	;;#ASMSTART
	s_wakeup
	;;#ASMEND
.LBB2_252:                              ;   in Loop: Header=BB2_221 Depth=2
	s_or_b32 exec_lo, exec_lo, s23
.LBB2_253:                              ;   in Loop: Header=BB2_221 Depth=2
	s_andn2_saveexec_b32 s12, s12
	s_cbranch_execz .LBB2_255
; %bb.254:                              ;   in Loop: Header=BB2_221 Depth=2
	s_waitcnt vmcnt(0) lgkmcnt(0)
	s_waitcnt_vscnt null, 0x0
	buffer_gl1_inv
	buffer_gl0_inv
	s_barrier
.LBB2_255:                              ;   in Loop: Header=BB2_221 Depth=2
	s_or_b32 exec_lo, exec_lo, s12
.LBB2_256:                              ;   in Loop: Header=BB2_221 Depth=2
	s_or_b32 exec_lo, exec_lo, s11
	v_add_nc_u32_e32 v18, 1, v70
	v_mov_b32_e32 v82, v4
	s_and_saveexec_b32 s12, s10
	s_cbranch_execnz .LBB2_263
; %bb.257:                              ;   in Loop: Header=BB2_221 Depth=2
	s_or_b32 exec_lo, exec_lo, s12
	s_and_saveexec_b32 s11, s7
	s_cbranch_execnz .LBB2_602
.LBB2_258:                              ;   in Loop: Header=BB2_221 Depth=2
	s_or_b32 exec_lo, exec_lo, s11
	s_and_saveexec_b32 s11, s9
	s_cbranch_execz .LBB2_260
.LBB2_259:                              ;   in Loop: Header=BB2_221 Depth=2
	v_add_co_u32 v38, vcc_lo, v38, 1
	v_add_co_ci_u32_e64 v39, null, 0, v39, vcc_lo
	s_waitcnt vmcnt(0) lgkmcnt(0)
	s_waitcnt_vscnt null, 0x0
	flat_store_dwordx2 v[48:49], v[38:39]
.LBB2_260:                              ;   in Loop: Header=BB2_221 Depth=2
	s_or_b32 exec_lo, exec_lo, s11
	v_and_b32_e32 v54, 0x7ffffff8, v70
	v_cmp_gt_i32_e64 s11, s18, v82
	v_cmp_eq_u64_e32 vcc_lo, 0x7ffffff8, v[54:55]
	s_and_b32 s11, vcc_lo, s11
	s_and_saveexec_b32 s12, s11
	s_cbranch_execz .LBB2_220
; %bb.261:                              ;   in Loop: Header=BB2_221 Depth=2
	v_and_b32_e32 v17, 7, v58
	v_ashrrev_i32_e32 v83, 31, v82
	s_mov_b32 s23, 0
	s_waitcnt vmcnt(0) lgkmcnt(0)
	v_mul_lo_u32 v19, s18, v17
	v_lshlrev_b64 v[21:22], 4, v[82:83]
	v_mov_b32_e32 v17, v55
	v_ashrrev_i32_e32 v20, 31, v19
	v_lshlrev_b64 v[19:20], 4, v[19:20]
	v_add_co_u32 v19, vcc_lo, v21, v19
	v_add_co_ci_u32_e64 v20, null, v22, v20, vcc_lo
	v_add_co_u32 v21, vcc_lo, v36, v19
	v_add_co_ci_u32_e64 v22, null, v37, v20, vcc_lo
.LBB2_262:                              ;   Parent Loop BB2_44 Depth=1
                                        ;     Parent Loop BB2_221 Depth=2
                                        ; =>    This Inner Loop Header: Depth=3
	v_mov_b32_e32 v19, v17
	v_add_nc_u32_e32 v82, v82, v1
	v_mov_b32_e32 v20, v18
	v_cmp_le_i32_e32 vcc_lo, s18, v82
	global_store_dwordx4 v[21:22], v[17:20], off
	v_add_co_u32 v21, s11, v21, v9
	v_add_co_ci_u32_e64 v22, null, v22, v10, s11
	s_or_b32 s23, vcc_lo, s23
	s_andn2_b32 exec_lo, exec_lo, s23
	s_cbranch_execnz .LBB2_262
	s_branch .LBB2_220
.LBB2_263:                              ;   in Loop: Header=BB2_221 Depth=2
	v_and_b32_e32 v17, 7, v34
	v_and_b32_e32 v21, 7, v70
	s_waitcnt vmcnt(0) lgkmcnt(0)
	v_mad_u64_u32 v[84:85], null, v99, v19, v[80:81]
	v_mul_lo_u32 v22, v100, v19
	v_mul_lo_u32 v20, v17, s18
	v_ashrrev_i32_e32 v17, 31, v19
	v_mul_lo_u32 v82, v21, s18
	v_add_nc_u32_e32 v59, 1, v34
	v_mov_b32_e32 v60, v46
	s_mov_b32 s23, 0
	v_mul_lo_u32 v17, v99, v17
	v_ashrrev_i32_e32 v21, 31, v20
	v_ashrrev_i32_e32 v83, 31, v82
	v_lshlrev_b64 v[19:20], 4, v[20:21]
	v_add3_u32 v85, v22, v85, v17
	v_lshlrev_b64 v[21:22], 4, v[82:83]
	v_mov_b32_e32 v82, v4
	v_add_co_u32 v61, vcc_lo, v32, v19
	v_add_co_ci_u32_e64 v62, null, v33, v20, vcc_lo
	v_add_co_u32 v63, vcc_lo, v36, v21
	v_add_co_ci_u32_e64 v72, null, v37, v22, vcc_lo
	s_branch .LBB2_267
.LBB2_264:                              ;   in Loop: Header=BB2_267 Depth=3
	s_or_b32 exec_lo, exec_lo, s11
	v_lshrrev_b32_e32 v97, 20, v97
	v_min_i32_e32 v74, 15, v54
	v_cmp_gt_i32_e32 vcc_lo, 16, v54
	v_and_b32_sdwa v21, v21, v41 dst_sel:DWORD dst_unused:UNUSED_PAD src0_sel:BYTE_3 src1_sel:DWORD
	v_lshlrev_b32_e32 v74, 3, v74
	v_cndmask_b32_e32 v97, 7, v97, vcc_lo
	v_and_b32_e32 v74, 0xf8, v74
	v_and_b32_e32 v75, 7, v97
	v_or_b32_e32 v54, v54, v97
	v_or3_b32 v21, v21, v74, v75
	v_cmp_ne_u32_e32 vcc_lo, 0, v54
	v_lshlrev_b32_e32 v21, 8, v21
	v_cndmask_b32_e32 v54, 0, v21, vcc_lo
.LBB2_265:                              ;   in Loop: Header=BB2_267 Depth=3
	s_or_b32 exec_lo, exec_lo, s25
.LBB2_266:                              ;   in Loop: Header=BB2_267 Depth=3
	s_or_b32 exec_lo, exec_lo, s24
	v_sub_nc_u32_e32 v60, v60, v103
	v_add_co_u32 v84, vcc_lo, v84, v103
	v_or_b32_e32 v17, v83, v17
	v_or_b32_sdwa v19, v19, v96 dst_sel:WORD_1 dst_unused:UNUSED_PAD src0_sel:DWORD src1_sel:DWORD
	v_or_b32_e32 v83, v73, v22
	v_or_b32_sdwa v20, v54, v20 dst_sel:WORD_1 dst_unused:UNUSED_PAD src0_sel:DWORD src1_sel:DWORD
	v_add_co_ci_u32_e64 v85, null, 0, v85, vcc_lo
	v_add_co_u32 v21, vcc_lo, v63, v86
	v_add_co_ci_u32_e64 v22, null, v72, v87, vcc_lo
	v_cmp_gt_i32_e32 vcc_lo, 1, v60
	v_or3_b32 v17, v17, v19, 0
	v_or3_b32 v19, v83, v20, 0
	v_mov_b32_e32 v20, v18
	v_add_nc_u32_e32 v82, v82, v1
	s_or_b32 s23, vcc_lo, s23
	global_store_dwordx4 v[21:22], v[17:20], off
	s_andn2_b32 exec_lo, exec_lo, s23
	s_cbranch_execz .LBB2_601
.LBB2_267:                              ;   Parent Loop BB2_44 Depth=1
                                        ;     Parent Loop BB2_221 Depth=2
                                        ; =>    This Loop Header: Depth=3
                                        ;         Child Loop BB2_275 Depth 4
	v_and_b32_e32 v19, -4, v84
	v_mov_b32_e32 v20, v85
	v_min_u32_e32 v21, 8, v60
	v_and_b32_e32 v22, 3, v84
	v_mov_b32_e32 v74, 0
	v_mov_b32_e32 v75, 0
	global_load_dword v17, v[19:20], off slc
	s_mov_b32 s11, exec_lo
	v_add_nc_u32_e32 v54, v22, v21
	v_cmpx_lt_u32_e32 4, v54
	s_cbranch_execz .LBB2_269
; %bb.268:                              ;   in Loop: Header=BB2_267 Depth=3
	global_load_dword v75, v[19:20], off offset:4 slc
.LBB2_269:                              ;   in Loop: Header=BB2_267 Depth=3
	s_or_b32 exec_lo, exec_lo, s11
	s_mov_b32 s11, exec_lo
	v_cmpx_lt_u64_e32 8, v[54:55]
	s_cbranch_execz .LBB2_271
; %bb.270:                              ;   in Loop: Header=BB2_267 Depth=3
	global_load_dword v74, v[19:20], off offset:8 slc
.LBB2_271:                              ;   in Loop: Header=BB2_267 Depth=3
	s_or_b32 exec_lo, exec_lo, s11
	v_mov_b32_e32 v83, v55
	v_lshlrev_b64 v[86:87], 4, v[82:83]
	v_add_co_u32 v96, vcc_lo, v61, v86
	v_add_co_ci_u32_e64 v97, null, v62, v87, vcc_lo
	v_cmp_eq_u32_e32 vcc_lo, 0, v45
	v_mov_b32_e32 v45, 1
	global_load_dwordx4 v[19:22], v[96:97], off slc
	s_and_saveexec_b32 s24, vcc_lo
	s_cbranch_execz .LBB2_283
; %bb.272:                              ;   in Loop: Header=BB2_267 Depth=3
	s_waitcnt vmcnt(0)
	v_cmp_ne_u32_e32 vcc_lo, v59, v20
	v_cmp_ne_u32_e64 s11, v59, v22
	v_mov_b32_e32 v45, 0
	s_or_b32 s11, vcc_lo, s11
	s_and_saveexec_b32 s25, s11
	s_cbranch_execz .LBB2_282
; %bb.273:                              ;   in Loop: Header=BB2_267 Depth=3
	s_mov_b32 s29, 1
	s_mov_b32 s27, 0
                                        ; implicit-def: $sgpr26
                                        ; implicit-def: $sgpr28
	s_inst_prefetch 0x1
	s_branch .LBB2_275
	.p2align	6
.LBB2_274:                              ;   in Loop: Header=BB2_275 Depth=4
	s_or_b32 exec_lo, exec_lo, s41
	s_and_b32 s11, exec_lo, s11
	s_or_b32 s27, s11, s27
	s_andn2_b32 s11, s26, exec_lo
	s_and_b32 s26, s28, exec_lo
	s_or_b32 s26, s11, s26
	s_andn2_b32 exec_lo, exec_lo, s27
	s_cbranch_execz .LBB2_279
.LBB2_275:                              ;   Parent Loop BB2_44 Depth=1
                                        ;     Parent Loop BB2_221 Depth=2
                                        ;       Parent Loop BB2_267 Depth=3
                                        ; =>      This Inner Loop Header: Depth=4
	global_load_dwordx4 v[19:22], v[96:97], off slc
	s_add_i32 s29, s29, 1
	s_mov_b32 s11, -1
	s_cmpk_lg_i32 s29, 0x2710
	s_mov_b32 s40, -1
                                        ; implicit-def: $vgpr54
	s_cbranch_scc0 .LBB2_277
; %bb.276:                              ;   in Loop: Header=BB2_275 Depth=4
	s_or_b32 s28, s28, exec_lo
	s_and_saveexec_b32 s41, s40
	s_cbranch_execz .LBB2_274
	s_branch .LBB2_278
	.p2align	6
.LBB2_277:                              ;   in Loop: Header=BB2_275 Depth=4
	s_trap 2
	ds_read_b64 v[76:77], v0
	s_mov_b32 s29, 0
	s_waitcnt vmcnt(0) lgkmcnt(0)
	s_waitcnt_vscnt null, 0x0
	flat_load_dword v54, v[76:77] glc dlc
	s_waitcnt vmcnt(0) lgkmcnt(0)
	buffer_gl1_inv
	buffer_gl0_inv
	v_cmp_eq_u32_e32 vcc_lo, 0, v54
	s_orn2_b32 s40, vcc_lo, exec_lo
	s_or_b32 s28, s28, exec_lo
	s_and_saveexec_b32 s41, s40
	s_cbranch_execz .LBB2_274
.LBB2_278:                              ;   in Loop: Header=BB2_275 Depth=4
	s_waitcnt vmcnt(0)
	v_cmp_eq_u32_e32 vcc_lo, v59, v20
	v_cmp_eq_u32_e64 s11, v59, v22
	s_andn2_b32 s28, s28, exec_lo
	s_and_b32 s11, vcc_lo, s11
	s_orn2_b32 s11, s11, exec_lo
	s_branch .LBB2_274
.LBB2_279:                              ;   in Loop: Header=BB2_267 Depth=3
	s_inst_prefetch 0x2
	s_or_b32 exec_lo, exec_lo, s27
	v_mov_b32_e32 v45, 0
	s_and_saveexec_b32 s11, s26
	s_xor_b32 s11, exec_lo, s11
	s_cbranch_execz .LBB2_281
; %bb.280:                              ;   in Loop: Header=BB2_267 Depth=3
	v_mov_b32_e32 v45, 1
	s_waitcnt vmcnt(0)
	s_waitcnt_vscnt null, 0x0
	ds_write_b32 v0, v54
	s_trap 2
.LBB2_281:                              ;   in Loop: Header=BB2_267 Depth=3
	s_or_b32 exec_lo, exec_lo, s11
.LBB2_282:                              ;   in Loop: Header=BB2_267 Depth=3
	s_or_b32 exec_lo, exec_lo, s25
.LBB2_283:                              ;   in Loop: Header=BB2_267 Depth=3
	s_or_b32 exec_lo, exec_lo, s24
	s_waitcnt vmcnt(0)
	v_lshlrev_b32_e32 v20, 3, v84
	s_mov_b32 s11, 0
	v_alignbit_b32 v22, v75, v17, v20
	v_cmp_gt_i16_sdwa s24, v22, v40 src0_sel:BYTE_0 src1_sel:DWORD
	s_and_saveexec_b32 s25, s24
	s_xor_b32 s24, exec_lo, s25
	s_cbranch_execnz .LBB2_505
; %bb.284:                              ;   in Loop: Header=BB2_267 Depth=3
	s_or_saveexec_b32 s24, s24
	v_mov_b32_e32 v17, 0x7f800001
	s_xor_b32 exec_lo, exec_lo, s24
	s_cbranch_execnz .LBB2_508
.LBB2_285:                              ;   in Loop: Header=BB2_267 Depth=3
	s_or_b32 exec_lo, exec_lo, s24
	s_and_saveexec_b32 s24, s11
	s_cbranch_execz .LBB2_287
.LBB2_286:                              ;   in Loop: Header=BB2_267 Depth=3
	v_and_b32_e32 v17, 7, v22
	v_bfe_u32 v96, v22, 3, 4
	v_lshlrev_b32_e32 v97, 24, v22
	v_ffbh_u32_e32 v54, v17
	v_cmp_eq_u32_e32 vcc_lo, 0, v96
	v_min_u32_e32 v54, 32, v54
	v_subrev_nc_u32_e32 v83, 28, v54
	v_sub_nc_u32_e32 v54, 29, v54
	v_lshlrev_b32_e32 v83, v83, v22
	v_cndmask_b32_e32 v54, v96, v54, vcc_lo
	v_and_b32_e32 v83, 7, v83
	v_lshl_add_u32 v54, v54, 23, 0x3b800000
	v_cndmask_b32_e32 v17, v17, v83, vcc_lo
	v_and_b32_e32 v83, 0x80000000, v97
	v_lshlrev_b32_e32 v17, 20, v17
	v_or3_b32 v17, v83, v54, v17
.LBB2_287:                              ;   in Loop: Header=BB2_267 Depth=3
	s_or_b32 exec_lo, exec_lo, s24
	v_mul_f32_e32 v54, v0, v17
	v_and_b32_e32 v17, 0x7f800000, v54
	v_cmp_ne_u32_e32 vcc_lo, 0x7f800000, v17
	v_mov_b32_e32 v17, 0x80
	s_and_saveexec_b32 s24, vcc_lo
	s_cbranch_execz .LBB2_295
; %bb.288:                              ;   in Loop: Header=BB2_267 Depth=3
	v_mov_b32_e32 v17, 0
	s_mov_b32 s25, exec_lo
	v_cmpx_ne_u32_e32 0, v54
	s_cbranch_execz .LBB2_294
; %bb.289:                              ;   in Loop: Header=BB2_267 Depth=3
	v_bfe_u32 v17, v54, 23, 8
	v_and_b32_e32 v83, 0x7fffff, v54
	v_sub_nc_u32_e32 v96, 0x78, v17
	v_cmp_gt_u32_e32 vcc_lo, 0x79, v17
	v_or_b32_e32 v97, 0x800000, v83
	v_cndmask_b32_e32 v96, 0, v96, vcc_lo
	v_cmp_eq_u32_e32 vcc_lo, 0, v17
	v_add_nc_u32_e32 v17, 0xffffff89, v17
	v_cndmask_b32_e64 v96, v96, 0x77, vcc_lo
	v_cndmask_b32_e32 v83, v97, v83, vcc_lo
	v_cndmask_b32_e64 v17, v17, 0xffffff8a, vcc_lo
	v_lshl_add_u32 v97, 0x100000, v96, -1
	v_lshrrev_b32_e32 v73, v96, v83
	v_lshlrev_b32_e64 v77, v96, 0x80000
	v_add_nc_u32_e32 v96, v96, v17
	v_and_b32_e32 v83, v97, v83
	v_bfe_u32 v76, v73, 20, 1
	v_cmp_eq_u32_e64 s11, v83, v77
	v_add_nc_u32_e32 v97, -1, v76
	v_cndmask_b32_e64 v83, 0, v97, s11
	v_lshrrev_b32_e32 v97, 23, v73
	s_mov_b32 s11, exec_lo
	v_add_nc_u32_e32 v83, v83, v73
	v_xor_b32_e32 v97, 1, v97
	v_and_b32_e32 v17, 0xfffff, v83
	v_add_nc_u32_e32 v83, v17, v73
                                        ; implicit-def: $vgpr17
	v_cmpx_ne_u32_e64 v96, v97
	s_xor_b32 s11, exec_lo, s11
; %bb.290:                              ;   in Loop: Header=BB2_267 Depth=3
	v_cmp_lt_u32_e32 vcc_lo, 0xffffff, v83
	v_sub_nc_u32_e32 v17, v96, v97
	v_cndmask_b32_e64 v96, 0, 1, vcc_lo
	v_add_co_ci_u32_e64 v17, null, 0, v17, vcc_lo
	v_lshrrev_b32_e32 v83, v96, v83
; %bb.291:                              ;   in Loop: Header=BB2_267 Depth=3
	s_andn2_saveexec_b32 s11, s11
; %bb.292:                              ;   in Loop: Header=BB2_267 Depth=3
	v_bfe_u32 v17, v83, 23, 1
; %bb.293:                              ;   in Loop: Header=BB2_267 Depth=3
	s_or_b32 exec_lo, exec_lo, s11
	v_lshrrev_b32_e32 v83, 20, v83
	v_min_i32_e32 v96, 15, v17
	v_cmp_gt_i32_e32 vcc_lo, 16, v17
	v_and_b32_sdwa v54, v54, v41 dst_sel:DWORD dst_unused:UNUSED_PAD src0_sel:BYTE_3 src1_sel:DWORD
	v_lshlrev_b32_e32 v96, 3, v96
	v_cndmask_b32_e32 v83, 7, v83, vcc_lo
	v_and_b32_e32 v96, 0xf8, v96
	v_and_b32_e32 v97, 7, v83
	v_or_b32_e32 v17, v17, v83
	v_or3_b32 v54, v96, v54, v97
	v_cmp_ne_u32_e32 vcc_lo, 0, v17
	v_cndmask_b32_e32 v17, 0, v54, vcc_lo
.LBB2_294:                              ;   in Loop: Header=BB2_267 Depth=3
	s_or_b32 exec_lo, exec_lo, s25
.LBB2_295:                              ;   in Loop: Header=BB2_267 Depth=3
	s_or_b32 exec_lo, exec_lo, s24
	v_cmp_gt_i16_sdwa s24, v22, v40 src0_sel:BYTE_1 src1_sel:DWORD
	s_mov_b32 s11, 0
	s_and_saveexec_b32 s25, s24
	s_xor_b32 s24, exec_lo, s25
	s_cbranch_execnz .LBB2_509
; %bb.296:                              ;   in Loop: Header=BB2_267 Depth=3
	s_or_saveexec_b32 s24, s24
	v_mov_b32_e32 v54, 0x7f800001
	s_xor_b32 exec_lo, exec_lo, s24
	s_cbranch_execnz .LBB2_512
.LBB2_297:                              ;   in Loop: Header=BB2_267 Depth=3
	s_or_b32 exec_lo, exec_lo, s24
	s_and_saveexec_b32 s24, s11
	s_cbranch_execz .LBB2_299
.LBB2_298:                              ;   in Loop: Header=BB2_267 Depth=3
	v_and_b32_sdwa v54, v42, v22 dst_sel:DWORD dst_unused:UNUSED_PAD src0_sel:DWORD src1_sel:BYTE_1
	v_and_b32_e32 v83, 7, v54
	v_bfe_u32 v73, v54, 3, 4
	v_ffbh_u32_e32 v96, v83
	v_cmp_eq_u32_e32 vcc_lo, 0, v73
	v_min_u32_e32 v96, 32, v96
	v_subrev_nc_u32_e32 v97, 28, v96
	v_sub_nc_u32_e32 v96, 29, v96
	v_lshlrev_b32_e32 v54, v97, v54
	v_lshlrev_b32_sdwa v97, v43, v22 dst_sel:DWORD dst_unused:UNUSED_PAD src0_sel:DWORD src1_sel:BYTE_1
	v_cndmask_b32_e32 v96, v73, v96, vcc_lo
	v_and_b32_e32 v54, 7, v54
	v_lshl_add_u32 v96, v96, 23, 0x3b800000
	v_cndmask_b32_e32 v54, v83, v54, vcc_lo
	v_and_b32_e32 v83, 0x80000000, v97
	v_lshlrev_b32_e32 v54, 20, v54
	v_or3_b32 v54, v83, v96, v54
.LBB2_299:                              ;   in Loop: Header=BB2_267 Depth=3
	s_or_b32 exec_lo, exec_lo, s24
	v_mul_f32_e32 v54, v0, v54
	v_and_b32_e32 v83, 0x7f800000, v54
	v_cmp_ne_u32_e32 vcc_lo, 0x7f800000, v83
	v_mov_b32_e32 v83, 0x8000
	s_and_saveexec_b32 s24, vcc_lo
	s_cbranch_execz .LBB2_307
; %bb.300:                              ;   in Loop: Header=BB2_267 Depth=3
	v_mov_b32_e32 v83, 0
	s_mov_b32 s25, exec_lo
	v_cmpx_ne_u32_e32 0, v54
	s_cbranch_execz .LBB2_306
; %bb.301:                              ;   in Loop: Header=BB2_267 Depth=3
	v_bfe_u32 v83, v54, 23, 8
	v_and_b32_e32 v96, 0x7fffff, v54
	v_sub_nc_u32_e32 v97, 0x78, v83
	v_cmp_gt_u32_e32 vcc_lo, 0x79, v83
	v_or_b32_e32 v73, 0x800000, v96
	v_cndmask_b32_e32 v97, 0, v97, vcc_lo
	v_cmp_eq_u32_e32 vcc_lo, 0, v83
	v_add_nc_u32_e32 v83, 0xffffff89, v83
	v_cndmask_b32_e64 v97, v97, 0x77, vcc_lo
	v_cndmask_b32_e32 v96, v73, v96, vcc_lo
	v_cndmask_b32_e64 v83, v83, 0xffffff8a, vcc_lo
	v_lshl_add_u32 v73, 0x100000, v97, -1
	v_lshrrev_b32_e32 v76, v97, v96
	v_lshlrev_b32_e64 v78, v97, 0x80000
	v_add_nc_u32_e32 v97, v97, v83
	v_and_b32_e32 v96, v73, v96
	v_bfe_u32 v77, v76, 20, 1
	v_cmp_eq_u32_e64 s11, v96, v78
	v_add_nc_u32_e32 v73, -1, v77
	v_cndmask_b32_e64 v96, 0, v73, s11
	v_lshrrev_b32_e32 v73, 23, v76
	s_mov_b32 s11, exec_lo
	v_add_nc_u32_e32 v96, v96, v76
	v_xor_b32_e32 v73, 1, v73
	v_and_b32_e32 v83, 0xfffff, v96
	v_add_nc_u32_e32 v96, v83, v76
                                        ; implicit-def: $vgpr83
	v_cmpx_ne_u32_e64 v97, v73
	s_xor_b32 s11, exec_lo, s11
; %bb.302:                              ;   in Loop: Header=BB2_267 Depth=3
	v_cmp_lt_u32_e32 vcc_lo, 0xffffff, v96
	v_sub_nc_u32_e32 v83, v97, v73
	v_cndmask_b32_e64 v97, 0, 1, vcc_lo
	v_add_co_ci_u32_e64 v83, null, 0, v83, vcc_lo
	v_lshrrev_b32_e32 v96, v97, v96
; %bb.303:                              ;   in Loop: Header=BB2_267 Depth=3
	s_andn2_saveexec_b32 s11, s11
; %bb.304:                              ;   in Loop: Header=BB2_267 Depth=3
	v_bfe_u32 v83, v96, 23, 1
; %bb.305:                              ;   in Loop: Header=BB2_267 Depth=3
	s_or_b32 exec_lo, exec_lo, s11
	v_lshrrev_b32_e32 v96, 20, v96
	v_min_i32_e32 v97, 15, v83
	v_cmp_gt_i32_e32 vcc_lo, 16, v83
	v_and_b32_sdwa v54, v54, v41 dst_sel:DWORD dst_unused:UNUSED_PAD src0_sel:BYTE_3 src1_sel:DWORD
	v_lshlrev_b32_e32 v97, 3, v97
	v_cndmask_b32_e32 v96, 7, v96, vcc_lo
	v_and_b32_e32 v97, 0xf8, v97
	v_and_b32_e32 v73, 7, v96
	v_or_b32_e32 v83, v83, v96
	v_or3_b32 v54, v54, v97, v73
	v_cmp_ne_u32_e32 vcc_lo, 0, v83
	v_lshlrev_b32_e32 v54, 8, v54
	v_cndmask_b32_e32 v83, 0, v54, vcc_lo
.LBB2_306:                              ;   in Loop: Header=BB2_267 Depth=3
	s_or_b32 exec_lo, exec_lo, s25
.LBB2_307:                              ;   in Loop: Header=BB2_267 Depth=3
	s_or_b32 exec_lo, exec_lo, s24
	v_and_b32_sdwa v96, v22, v44 dst_sel:DWORD dst_unused:UNUSED_PAD src0_sel:WORD_1 src1_sel:DWORD
	s_mov_b32 s11, 0
	s_mov_b32 s24, exec_lo
	v_cmpx_lt_i16_e32 0x7f, v96
	s_xor_b32 s24, exec_lo, s24
	s_cbranch_execnz .LBB2_513
; %bb.308:                              ;   in Loop: Header=BB2_267 Depth=3
	s_or_saveexec_b32 s24, s24
	v_mov_b32_e32 v54, 0x7f800001
	s_xor_b32 exec_lo, exec_lo, s24
	s_cbranch_execnz .LBB2_516
.LBB2_309:                              ;   in Loop: Header=BB2_267 Depth=3
	s_or_b32 exec_lo, exec_lo, s24
	s_and_saveexec_b32 s24, s11
	s_cbranch_execz .LBB2_311
.LBB2_310:                              ;   in Loop: Header=BB2_267 Depth=3
	v_bfe_u32 v54, v22, 16, 3
	v_bfe_u32 v73, v22, 19, 4
	v_lshlrev_b32_e32 v76, 8, v22
	v_ffbh_u32_e32 v96, v54
	v_cmp_eq_u32_e32 vcc_lo, 0, v73
	v_min_u32_e32 v96, 32, v96
	v_subrev_nc_u32_e32 v97, 28, v96
	v_sub_nc_u32_e32 v96, 29, v96
	v_lshlrev_b32_sdwa v97, v97, v22 dst_sel:DWORD dst_unused:UNUSED_PAD src0_sel:DWORD src1_sel:WORD_1
	v_cndmask_b32_e32 v96, v73, v96, vcc_lo
	v_and_b32_e32 v97, 7, v97
	v_lshl_add_u32 v96, v96, 23, 0x3b800000
	v_cndmask_b32_e32 v54, v54, v97, vcc_lo
	v_and_b32_e32 v97, 0x80000000, v76
	v_lshlrev_b32_e32 v54, 20, v54
	v_or3_b32 v54, v97, v96, v54
.LBB2_311:                              ;   in Loop: Header=BB2_267 Depth=3
	s_or_b32 exec_lo, exec_lo, s24
	v_mul_f32_e32 v54, v0, v54
	v_and_b32_e32 v96, 0x7f800000, v54
	v_cmp_ne_u32_e32 vcc_lo, 0x7f800000, v96
	v_mov_b32_e32 v96, 0x80
	s_and_saveexec_b32 s24, vcc_lo
	s_cbranch_execz .LBB2_319
; %bb.312:                              ;   in Loop: Header=BB2_267 Depth=3
	v_mov_b32_e32 v96, 0
	s_mov_b32 s25, exec_lo
	v_cmpx_ne_u32_e32 0, v54
	s_cbranch_execz .LBB2_318
; %bb.313:                              ;   in Loop: Header=BB2_267 Depth=3
	v_bfe_u32 v96, v54, 23, 8
	v_and_b32_e32 v97, 0x7fffff, v54
	v_sub_nc_u32_e32 v73, 0x78, v96
	v_cmp_gt_u32_e32 vcc_lo, 0x79, v96
	v_or_b32_e32 v76, 0x800000, v97
	v_cndmask_b32_e32 v73, 0, v73, vcc_lo
	v_cmp_eq_u32_e32 vcc_lo, 0, v96
	v_add_nc_u32_e32 v96, 0xffffff89, v96
	v_cndmask_b32_e64 v73, v73, 0x77, vcc_lo
	v_cndmask_b32_e32 v97, v76, v97, vcc_lo
	v_cndmask_b32_e64 v96, v96, 0xffffff8a, vcc_lo
	v_lshl_add_u32 v76, 0x100000, v73, -1
	v_lshrrev_b32_e32 v77, v73, v97
	v_lshlrev_b32_e64 v79, v73, 0x80000
	v_add_nc_u32_e32 v73, v73, v96
	v_and_b32_e32 v97, v76, v97
	v_bfe_u32 v78, v77, 20, 1
	v_cmp_eq_u32_e64 s11, v97, v79
	v_add_nc_u32_e32 v76, -1, v78
	v_cndmask_b32_e64 v97, 0, v76, s11
	v_lshrrev_b32_e32 v76, 23, v77
	s_mov_b32 s11, exec_lo
	v_add_nc_u32_e32 v97, v97, v77
	v_xor_b32_e32 v76, 1, v76
	v_and_b32_e32 v96, 0xfffff, v97
	v_add_nc_u32_e32 v97, v96, v77
                                        ; implicit-def: $vgpr96
	v_cmpx_ne_u32_e64 v73, v76
	s_xor_b32 s11, exec_lo, s11
; %bb.314:                              ;   in Loop: Header=BB2_267 Depth=3
	v_cmp_lt_u32_e32 vcc_lo, 0xffffff, v97
	v_sub_nc_u32_e32 v96, v73, v76
	v_cndmask_b32_e64 v73, 0, 1, vcc_lo
	v_add_co_ci_u32_e64 v96, null, 0, v96, vcc_lo
	v_lshrrev_b32_e32 v97, v73, v97
; %bb.315:                              ;   in Loop: Header=BB2_267 Depth=3
	s_andn2_saveexec_b32 s11, s11
; %bb.316:                              ;   in Loop: Header=BB2_267 Depth=3
	v_bfe_u32 v96, v97, 23, 1
; %bb.317:                              ;   in Loop: Header=BB2_267 Depth=3
	s_or_b32 exec_lo, exec_lo, s11
	v_lshrrev_b32_e32 v97, 20, v97
	v_min_i32_e32 v73, 15, v96
	v_cmp_gt_i32_e32 vcc_lo, 16, v96
	v_and_b32_sdwa v54, v54, v41 dst_sel:DWORD dst_unused:UNUSED_PAD src0_sel:BYTE_3 src1_sel:DWORD
	v_lshlrev_b32_e32 v73, 3, v73
	v_cndmask_b32_e32 v97, 7, v97, vcc_lo
	v_and_b32_e32 v73, 0xf8, v73
	v_and_b32_e32 v76, 7, v97
	v_or_b32_e32 v96, v96, v97
	v_or3_b32 v54, v73, v54, v76
	v_cmp_ne_u32_e32 vcc_lo, 0, v96
	v_cndmask_b32_e32 v96, 0, v54, vcc_lo
.LBB2_318:                              ;   in Loop: Header=BB2_267 Depth=3
	s_or_b32 exec_lo, exec_lo, s25
.LBB2_319:                              ;   in Loop: Header=BB2_267 Depth=3
	s_or_b32 exec_lo, exec_lo, s24
	v_cmp_gt_i16_sdwa s24, v22, v40 src0_sel:BYTE_3 src1_sel:DWORD
	s_mov_b32 s11, 0
	s_and_saveexec_b32 s25, s24
	s_xor_b32 s24, exec_lo, s25
	s_cbranch_execnz .LBB2_517
; %bb.320:                              ;   in Loop: Header=BB2_267 Depth=3
	s_or_saveexec_b32 s24, s24
	v_mov_b32_e32 v54, 0x7f800001
	s_xor_b32 exec_lo, exec_lo, s24
	s_cbranch_execnz .LBB2_520
.LBB2_321:                              ;   in Loop: Header=BB2_267 Depth=3
	s_or_b32 exec_lo, exec_lo, s24
	s_and_saveexec_b32 s24, s11
	s_cbranch_execz .LBB2_323
.LBB2_322:                              ;   in Loop: Header=BB2_267 Depth=3
	v_bfe_u32 v54, v22, 24, 3
	v_bfe_u32 v76, v22, 27, 4
	v_ffbh_u32_e32 v97, v54
	v_cmp_eq_u32_e32 vcc_lo, 0, v76
	v_min_u32_e32 v97, 32, v97
	v_subrev_nc_u32_e32 v73, 28, v97
	v_sub_nc_u32_e32 v97, 29, v97
	v_lshlrev_b32_sdwa v73, v73, v22 dst_sel:DWORD dst_unused:UNUSED_PAD src0_sel:DWORD src1_sel:BYTE_3
	v_cndmask_b32_e32 v97, v76, v97, vcc_lo
	v_and_b32_e32 v22, 0x80000000, v22
	v_and_b32_e32 v73, 7, v73
	v_lshl_add_u32 v97, v97, 23, 0x3b800000
	v_cndmask_b32_e32 v54, v54, v73, vcc_lo
	v_lshlrev_b32_e32 v54, 20, v54
	v_or3_b32 v54, v22, v97, v54
.LBB2_323:                              ;   in Loop: Header=BB2_267 Depth=3
	s_or_b32 exec_lo, exec_lo, s24
	v_mul_f32_e32 v22, v0, v54
	v_mov_b32_e32 v73, 0x8000
	s_mov_b32 s24, exec_lo
	v_and_b32_e32 v54, 0x7f800000, v22
	v_cmpx_ne_u32_e32 0x7f800000, v54
	s_cbranch_execz .LBB2_331
; %bb.324:                              ;   in Loop: Header=BB2_267 Depth=3
	v_mov_b32_e32 v73, 0
	s_mov_b32 s25, exec_lo
	v_cmpx_ne_u32_e32 0, v22
	s_cbranch_execz .LBB2_330
; %bb.325:                              ;   in Loop: Header=BB2_267 Depth=3
	v_bfe_u32 v54, v22, 23, 8
	v_and_b32_e32 v97, 0x7fffff, v22
	v_sub_nc_u32_e32 v73, 0x78, v54
	v_cmp_gt_u32_e32 vcc_lo, 0x79, v54
	v_or_b32_e32 v76, 0x800000, v97
	v_cndmask_b32_e32 v73, 0, v73, vcc_lo
	v_cmp_eq_u32_e32 vcc_lo, 0, v54
	v_add_nc_u32_e32 v54, 0xffffff89, v54
	v_cndmask_b32_e64 v73, v73, 0x77, vcc_lo
	v_cndmask_b32_e32 v97, v76, v97, vcc_lo
	v_cndmask_b32_e64 v54, v54, 0xffffff8a, vcc_lo
	v_lshl_add_u32 v76, 0x100000, v73, -1
	v_lshrrev_b32_e32 v77, v73, v97
	v_lshlrev_b32_e64 v79, v73, 0x80000
	v_add_nc_u32_e32 v73, v73, v54
	v_and_b32_e32 v97, v76, v97
	v_bfe_u32 v78, v77, 20, 1
	v_cmp_eq_u32_e64 s11, v97, v79
	v_add_nc_u32_e32 v76, -1, v78
	v_cndmask_b32_e64 v97, 0, v76, s11
	v_lshrrev_b32_e32 v76, 23, v77
	s_mov_b32 s11, exec_lo
	v_add_nc_u32_e32 v97, v97, v77
	v_xor_b32_e32 v76, 1, v76
	v_and_b32_e32 v54, 0xfffff, v97
	v_add_nc_u32_e32 v97, v54, v77
                                        ; implicit-def: $vgpr54
	v_cmpx_ne_u32_e64 v73, v76
	s_xor_b32 s11, exec_lo, s11
; %bb.326:                              ;   in Loop: Header=BB2_267 Depth=3
	v_cmp_lt_u32_e32 vcc_lo, 0xffffff, v97
	v_sub_nc_u32_e32 v54, v73, v76
	v_cndmask_b32_e64 v73, 0, 1, vcc_lo
	v_add_co_ci_u32_e64 v54, null, 0, v54, vcc_lo
	v_lshrrev_b32_e32 v97, v73, v97
; %bb.327:                              ;   in Loop: Header=BB2_267 Depth=3
	s_andn2_saveexec_b32 s11, s11
; %bb.328:                              ;   in Loop: Header=BB2_267 Depth=3
	v_bfe_u32 v54, v97, 23, 1
; %bb.329:                              ;   in Loop: Header=BB2_267 Depth=3
	s_or_b32 exec_lo, exec_lo, s11
	v_lshrrev_b32_e32 v97, 20, v97
	v_min_i32_e32 v73, 15, v54
	v_cmp_gt_i32_e32 vcc_lo, 16, v54
	v_and_b32_sdwa v22, v22, v41 dst_sel:DWORD dst_unused:UNUSED_PAD src0_sel:BYTE_3 src1_sel:DWORD
	v_lshlrev_b32_e32 v73, 3, v73
	v_cndmask_b32_e32 v97, 7, v97, vcc_lo
	v_and_b32_e32 v73, 0xf8, v73
	v_and_b32_e32 v76, 7, v97
	v_or_b32_e32 v54, v54, v97
	v_or3_b32 v22, v22, v73, v76
	v_cmp_ne_u32_e32 vcc_lo, 0, v54
	v_lshlrev_b32_e32 v22, 8, v22
	v_cndmask_b32_e32 v73, 0, v22, vcc_lo
.LBB2_330:                              ;   in Loop: Header=BB2_267 Depth=3
	s_or_b32 exec_lo, exec_lo, s25
.LBB2_331:                              ;   in Loop: Header=BB2_267 Depth=3
	s_or_b32 exec_lo, exec_lo, s24
	v_alignbit_b32 v54, v74, v75, v20
	s_mov_b32 s11, 0
	v_cmp_gt_i16_sdwa s24, v54, v40 src0_sel:BYTE_0 src1_sel:DWORD
	s_and_saveexec_b32 s25, s24
	s_xor_b32 s24, exec_lo, s25
	s_cbranch_execnz .LBB2_521
; %bb.332:                              ;   in Loop: Header=BB2_267 Depth=3
	s_or_saveexec_b32 s24, s24
	v_mov_b32_e32 v20, 0x7f800001
	s_xor_b32 exec_lo, exec_lo, s24
	s_cbranch_execnz .LBB2_524
.LBB2_333:                              ;   in Loop: Header=BB2_267 Depth=3
	s_or_b32 exec_lo, exec_lo, s24
	s_and_saveexec_b32 s24, s11
	s_cbranch_execz .LBB2_335
.LBB2_334:                              ;   in Loop: Header=BB2_267 Depth=3
	v_and_b32_e32 v20, 7, v54
	v_bfe_u32 v74, v54, 3, 4
	v_lshlrev_b32_e32 v75, 24, v54
	v_ffbh_u32_e32 v22, v20
	v_cmp_eq_u32_e32 vcc_lo, 0, v74
	v_min_u32_e32 v22, 32, v22
	v_subrev_nc_u32_e32 v97, 28, v22
	v_sub_nc_u32_e32 v22, 29, v22
	v_lshlrev_b32_e32 v97, v97, v54
	v_cndmask_b32_e32 v22, v74, v22, vcc_lo
	v_and_b32_e32 v97, 7, v97
	v_lshl_add_u32 v22, v22, 23, 0x3b800000
	v_cndmask_b32_e32 v20, v20, v97, vcc_lo
	v_and_b32_e32 v97, 0x80000000, v75
	v_lshlrev_b32_e32 v20, 20, v20
	v_or3_b32 v20, v97, v22, v20
.LBB2_335:                              ;   in Loop: Header=BB2_267 Depth=3
	s_or_b32 exec_lo, exec_lo, s24
	v_mul_f32_e32 v20, v0, v20
	v_and_b32_e32 v22, 0x7f800000, v20
	v_cmp_ne_u32_e32 vcc_lo, 0x7f800000, v22
	v_mov_b32_e32 v22, 0x80
	s_and_saveexec_b32 s24, vcc_lo
	s_cbranch_execz .LBB2_343
; %bb.336:                              ;   in Loop: Header=BB2_267 Depth=3
	v_mov_b32_e32 v22, 0
	s_mov_b32 s25, exec_lo
	v_cmpx_ne_u32_e32 0, v20
	s_cbranch_execz .LBB2_342
; %bb.337:                              ;   in Loop: Header=BB2_267 Depth=3
	v_bfe_u32 v22, v20, 23, 8
	v_and_b32_e32 v97, 0x7fffff, v20
	v_sub_nc_u32_e32 v74, 0x78, v22
	v_cmp_gt_u32_e32 vcc_lo, 0x79, v22
	v_or_b32_e32 v75, 0x800000, v97
	v_cndmask_b32_e32 v74, 0, v74, vcc_lo
	v_cmp_eq_u32_e32 vcc_lo, 0, v22
	v_add_nc_u32_e32 v22, 0xffffff89, v22
	v_cndmask_b32_e64 v74, v74, 0x77, vcc_lo
	v_cndmask_b32_e32 v97, v75, v97, vcc_lo
	v_cndmask_b32_e64 v22, v22, 0xffffff8a, vcc_lo
	v_lshl_add_u32 v75, 0x100000, v74, -1
	v_lshrrev_b32_e32 v76, v74, v97
	v_lshlrev_b32_e64 v78, v74, 0x80000
	v_add_nc_u32_e32 v74, v74, v22
	v_and_b32_e32 v97, v75, v97
	v_bfe_u32 v77, v76, 20, 1
	v_cmp_eq_u32_e64 s11, v97, v78
	v_add_nc_u32_e32 v75, -1, v77
	v_cndmask_b32_e64 v97, 0, v75, s11
	v_lshrrev_b32_e32 v75, 23, v76
	s_mov_b32 s11, exec_lo
	v_add_nc_u32_e32 v97, v97, v76
	v_xor_b32_e32 v75, 1, v75
	v_and_b32_e32 v22, 0xfffff, v97
	v_add_nc_u32_e32 v97, v22, v76
                                        ; implicit-def: $vgpr22
	v_cmpx_ne_u32_e64 v74, v75
	s_xor_b32 s11, exec_lo, s11
; %bb.338:                              ;   in Loop: Header=BB2_267 Depth=3
	v_cmp_lt_u32_e32 vcc_lo, 0xffffff, v97
	v_sub_nc_u32_e32 v22, v74, v75
	v_cndmask_b32_e64 v74, 0, 1, vcc_lo
	v_add_co_ci_u32_e64 v22, null, 0, v22, vcc_lo
	v_lshrrev_b32_e32 v97, v74, v97
; %bb.339:                              ;   in Loop: Header=BB2_267 Depth=3
	s_andn2_saveexec_b32 s11, s11
; %bb.340:                              ;   in Loop: Header=BB2_267 Depth=3
	v_bfe_u32 v22, v97, 23, 1
; %bb.341:                              ;   in Loop: Header=BB2_267 Depth=3
	s_or_b32 exec_lo, exec_lo, s11
	v_lshrrev_b32_e32 v97, 20, v97
	v_min_i32_e32 v74, 15, v22
	v_cmp_gt_i32_e32 vcc_lo, 16, v22
	v_and_b32_sdwa v20, v20, v41 dst_sel:DWORD dst_unused:UNUSED_PAD src0_sel:BYTE_3 src1_sel:DWORD
	v_lshlrev_b32_e32 v74, 3, v74
	v_cndmask_b32_e32 v97, 7, v97, vcc_lo
	v_and_b32_e32 v74, 0xf8, v74
	v_and_b32_e32 v75, 7, v97
	v_or_b32_e32 v22, v22, v97
	v_or3_b32 v20, v74, v20, v75
	v_cmp_ne_u32_e32 vcc_lo, 0, v22
	v_cndmask_b32_e32 v22, 0, v20, vcc_lo
.LBB2_342:                              ;   in Loop: Header=BB2_267 Depth=3
	s_or_b32 exec_lo, exec_lo, s25
.LBB2_343:                              ;   in Loop: Header=BB2_267 Depth=3
	s_or_b32 exec_lo, exec_lo, s24
	v_cmp_gt_i16_sdwa s24, v54, v40 src0_sel:BYTE_1 src1_sel:DWORD
	s_mov_b32 s11, 0
	s_and_saveexec_b32 s25, s24
	s_xor_b32 s24, exec_lo, s25
	s_cbranch_execnz .LBB2_525
; %bb.344:                              ;   in Loop: Header=BB2_267 Depth=3
	s_or_saveexec_b32 s24, s24
	v_mov_b32_e32 v20, 0x7f800001
	s_xor_b32 exec_lo, exec_lo, s24
	s_cbranch_execnz .LBB2_528
.LBB2_345:                              ;   in Loop: Header=BB2_267 Depth=3
	s_or_b32 exec_lo, exec_lo, s24
	s_and_saveexec_b32 s24, s11
	s_cbranch_execz .LBB2_347
.LBB2_346:                              ;   in Loop: Header=BB2_267 Depth=3
	v_and_b32_sdwa v20, v42, v54 dst_sel:DWORD dst_unused:UNUSED_PAD src0_sel:DWORD src1_sel:BYTE_1
	v_and_b32_e32 v97, 7, v20
	v_bfe_u32 v76, v20, 3, 4
	v_ffbh_u32_e32 v74, v97
	v_cmp_eq_u32_e32 vcc_lo, 0, v76
	v_min_u32_e32 v74, 32, v74
	v_subrev_nc_u32_e32 v75, 28, v74
	v_sub_nc_u32_e32 v74, 29, v74
	v_lshlrev_b32_e32 v20, v75, v20
	v_lshlrev_b32_sdwa v75, v43, v54 dst_sel:DWORD dst_unused:UNUSED_PAD src0_sel:DWORD src1_sel:BYTE_1
	v_cndmask_b32_e32 v74, v76, v74, vcc_lo
	v_and_b32_e32 v20, 7, v20
	v_lshl_add_u32 v74, v74, 23, 0x3b800000
	v_cndmask_b32_e32 v20, v97, v20, vcc_lo
	v_and_b32_e32 v97, 0x80000000, v75
	v_lshlrev_b32_e32 v20, 20, v20
	v_or3_b32 v20, v97, v74, v20
.LBB2_347:                              ;   in Loop: Header=BB2_267 Depth=3
	s_or_b32 exec_lo, exec_lo, s24
	v_mul_f32_e32 v20, v0, v20
	v_and_b32_e32 v97, 0x7f800000, v20
	v_cmp_ne_u32_e32 vcc_lo, 0x7f800000, v97
	v_mov_b32_e32 v97, 0x8000
	s_and_saveexec_b32 s24, vcc_lo
	s_cbranch_execz .LBB2_355
; %bb.348:                              ;   in Loop: Header=BB2_267 Depth=3
	v_mov_b32_e32 v97, 0
	s_mov_b32 s25, exec_lo
	v_cmpx_ne_u32_e32 0, v20
	s_cbranch_execz .LBB2_354
; %bb.349:                              ;   in Loop: Header=BB2_267 Depth=3
	v_bfe_u32 v97, v20, 23, 8
	v_and_b32_e32 v74, 0x7fffff, v20
	v_sub_nc_u32_e32 v75, 0x78, v97
	v_cmp_gt_u32_e32 vcc_lo, 0x79, v97
	v_or_b32_e32 v76, 0x800000, v74
	v_cndmask_b32_e32 v75, 0, v75, vcc_lo
	v_cmp_eq_u32_e32 vcc_lo, 0, v97
	v_add_nc_u32_e32 v97, 0xffffff89, v97
	v_cndmask_b32_e64 v75, v75, 0x77, vcc_lo
	v_cndmask_b32_e32 v74, v76, v74, vcc_lo
	v_cndmask_b32_e64 v97, v97, 0xffffff8a, vcc_lo
	v_lshl_add_u32 v76, 0x100000, v75, -1
	v_lshrrev_b32_e32 v77, v75, v74
	v_lshlrev_b32_e64 v79, v75, 0x80000
	v_add_nc_u32_e32 v75, v75, v97
	v_and_b32_e32 v74, v76, v74
	v_bfe_u32 v78, v77, 20, 1
	v_cmp_eq_u32_e64 s11, v74, v79
	v_add_nc_u32_e32 v76, -1, v78
	v_cndmask_b32_e64 v74, 0, v76, s11
	v_lshrrev_b32_e32 v76, 23, v77
	s_mov_b32 s11, exec_lo
	v_add_nc_u32_e32 v74, v74, v77
	v_xor_b32_e32 v76, 1, v76
	v_and_b32_e32 v97, 0xfffff, v74
	v_add_nc_u32_e32 v74, v97, v77
                                        ; implicit-def: $vgpr97
	v_cmpx_ne_u32_e64 v75, v76
	s_xor_b32 s11, exec_lo, s11
; %bb.350:                              ;   in Loop: Header=BB2_267 Depth=3
	v_cmp_lt_u32_e32 vcc_lo, 0xffffff, v74
	v_sub_nc_u32_e32 v97, v75, v76
	v_cndmask_b32_e64 v75, 0, 1, vcc_lo
	v_add_co_ci_u32_e64 v97, null, 0, v97, vcc_lo
	v_lshrrev_b32_e32 v74, v75, v74
; %bb.351:                              ;   in Loop: Header=BB2_267 Depth=3
	s_andn2_saveexec_b32 s11, s11
; %bb.352:                              ;   in Loop: Header=BB2_267 Depth=3
	v_bfe_u32 v97, v74, 23, 1
; %bb.353:                              ;   in Loop: Header=BB2_267 Depth=3
	s_or_b32 exec_lo, exec_lo, s11
	v_lshrrev_b32_e32 v74, 20, v74
	v_min_i32_e32 v75, 15, v97
	v_cmp_gt_i32_e32 vcc_lo, 16, v97
	v_and_b32_sdwa v20, v20, v41 dst_sel:DWORD dst_unused:UNUSED_PAD src0_sel:BYTE_3 src1_sel:DWORD
	v_lshlrev_b32_e32 v75, 3, v75
	v_cndmask_b32_e32 v74, 7, v74, vcc_lo
	v_and_b32_e32 v75, 0xf8, v75
	v_and_b32_e32 v76, 7, v74
	v_or_b32_e32 v97, v97, v74
	v_or3_b32 v20, v20, v75, v76
	v_cmp_ne_u32_e32 vcc_lo, 0, v97
	v_lshlrev_b32_e32 v20, 8, v20
	v_cndmask_b32_e32 v97, 0, v20, vcc_lo
.LBB2_354:                              ;   in Loop: Header=BB2_267 Depth=3
	s_or_b32 exec_lo, exec_lo, s25
.LBB2_355:                              ;   in Loop: Header=BB2_267 Depth=3
	s_or_b32 exec_lo, exec_lo, s24
	v_and_b32_sdwa v74, v54, v44 dst_sel:DWORD dst_unused:UNUSED_PAD src0_sel:WORD_1 src1_sel:DWORD
	s_mov_b32 s11, 0
	s_mov_b32 s24, exec_lo
	v_cmpx_lt_i16_e32 0x7f, v74
	s_xor_b32 s24, exec_lo, s24
	s_cbranch_execnz .LBB2_529
; %bb.356:                              ;   in Loop: Header=BB2_267 Depth=3
	s_or_saveexec_b32 s24, s24
	v_mov_b32_e32 v20, 0x7f800001
	s_xor_b32 exec_lo, exec_lo, s24
	s_cbranch_execnz .LBB2_532
.LBB2_357:                              ;   in Loop: Header=BB2_267 Depth=3
	s_or_b32 exec_lo, exec_lo, s24
	s_and_saveexec_b32 s24, s11
	s_cbranch_execz .LBB2_359
.LBB2_358:                              ;   in Loop: Header=BB2_267 Depth=3
	v_bfe_u32 v20, v54, 16, 3
	v_bfe_u32 v76, v54, 19, 4
	v_lshlrev_b32_e32 v77, 8, v54
	v_ffbh_u32_e32 v74, v20
	v_cmp_eq_u32_e32 vcc_lo, 0, v76
	v_min_u32_e32 v74, 32, v74
	v_subrev_nc_u32_e32 v75, 28, v74
	v_sub_nc_u32_e32 v74, 29, v74
	v_lshlrev_b32_sdwa v75, v75, v54 dst_sel:DWORD dst_unused:UNUSED_PAD src0_sel:DWORD src1_sel:WORD_1
	v_cndmask_b32_e32 v74, v76, v74, vcc_lo
	v_and_b32_e32 v75, 7, v75
	v_lshl_add_u32 v74, v74, 23, 0x3b800000
	v_cndmask_b32_e32 v20, v20, v75, vcc_lo
	v_and_b32_e32 v75, 0x80000000, v77
	v_lshlrev_b32_e32 v20, 20, v20
	v_or3_b32 v20, v75, v74, v20
.LBB2_359:                              ;   in Loop: Header=BB2_267 Depth=3
	s_or_b32 exec_lo, exec_lo, s24
	v_mul_f32_e32 v74, v0, v20
	v_and_b32_e32 v20, 0x7f800000, v74
	v_cmp_ne_u32_e32 vcc_lo, 0x7f800000, v20
	v_mov_b32_e32 v20, 0x80
	s_and_saveexec_b32 s24, vcc_lo
	s_cbranch_execz .LBB2_367
; %bb.360:                              ;   in Loop: Header=BB2_267 Depth=3
	v_mov_b32_e32 v20, 0
	s_mov_b32 s25, exec_lo
	v_cmpx_ne_u32_e32 0, v74
	s_cbranch_execz .LBB2_366
; %bb.361:                              ;   in Loop: Header=BB2_267 Depth=3
	v_bfe_u32 v20, v74, 23, 8
	v_and_b32_e32 v75, 0x7fffff, v74
	v_sub_nc_u32_e32 v76, 0x78, v20
	v_cmp_gt_u32_e32 vcc_lo, 0x79, v20
	v_or_b32_e32 v77, 0x800000, v75
	v_cndmask_b32_e32 v76, 0, v76, vcc_lo
	v_cmp_eq_u32_e32 vcc_lo, 0, v20
	v_add_nc_u32_e32 v20, 0xffffff89, v20
	v_cndmask_b32_e64 v76, v76, 0x77, vcc_lo
	v_cndmask_b32_e32 v75, v77, v75, vcc_lo
	v_cndmask_b32_e64 v20, v20, 0xffffff8a, vcc_lo
	v_lshl_add_u32 v77, 0x100000, v76, -1
	v_lshrrev_b32_e32 v78, v76, v75
	v_lshlrev_b32_e64 v88, v76, 0x80000
	v_add_nc_u32_e32 v76, v76, v20
	v_and_b32_e32 v75, v77, v75
	v_bfe_u32 v79, v78, 20, 1
	v_cmp_eq_u32_e64 s11, v75, v88
	v_add_nc_u32_e32 v77, -1, v79
	v_cndmask_b32_e64 v75, 0, v77, s11
	v_lshrrev_b32_e32 v77, 23, v78
	s_mov_b32 s11, exec_lo
	v_add_nc_u32_e32 v75, v75, v78
	v_xor_b32_e32 v77, 1, v77
	v_and_b32_e32 v20, 0xfffff, v75
	v_add_nc_u32_e32 v75, v20, v78
                                        ; implicit-def: $vgpr20
	v_cmpx_ne_u32_e64 v76, v77
	s_xor_b32 s11, exec_lo, s11
; %bb.362:                              ;   in Loop: Header=BB2_267 Depth=3
	v_cmp_lt_u32_e32 vcc_lo, 0xffffff, v75
	v_sub_nc_u32_e32 v20, v76, v77
	v_cndmask_b32_e64 v76, 0, 1, vcc_lo
	v_add_co_ci_u32_e64 v20, null, 0, v20, vcc_lo
	v_lshrrev_b32_e32 v75, v76, v75
; %bb.363:                              ;   in Loop: Header=BB2_267 Depth=3
	s_andn2_saveexec_b32 s11, s11
; %bb.364:                              ;   in Loop: Header=BB2_267 Depth=3
	v_bfe_u32 v20, v75, 23, 1
; %bb.365:                              ;   in Loop: Header=BB2_267 Depth=3
	s_or_b32 exec_lo, exec_lo, s11
	v_lshrrev_b32_e32 v75, 20, v75
	v_min_i32_e32 v76, 15, v20
	v_cmp_gt_i32_e32 vcc_lo, 16, v20
	v_and_b32_sdwa v74, v74, v41 dst_sel:DWORD dst_unused:UNUSED_PAD src0_sel:BYTE_3 src1_sel:DWORD
	v_lshlrev_b32_e32 v76, 3, v76
	v_cndmask_b32_e32 v75, 7, v75, vcc_lo
	v_and_b32_e32 v76, 0xf8, v76
	v_and_b32_e32 v77, 7, v75
	v_or_b32_e32 v20, v20, v75
	v_or3_b32 v74, v76, v74, v77
	v_cmp_ne_u32_e32 vcc_lo, 0, v20
	v_cndmask_b32_e32 v20, 0, v74, vcc_lo
.LBB2_366:                              ;   in Loop: Header=BB2_267 Depth=3
	s_or_b32 exec_lo, exec_lo, s25
.LBB2_367:                              ;   in Loop: Header=BB2_267 Depth=3
	s_or_b32 exec_lo, exec_lo, s24
	v_cmp_gt_i16_sdwa s24, v54, v40 src0_sel:BYTE_3 src1_sel:DWORD
	s_mov_b32 s11, 0
	s_and_saveexec_b32 s25, s24
	s_xor_b32 s24, exec_lo, s25
	s_cbranch_execnz .LBB2_533
; %bb.368:                              ;   in Loop: Header=BB2_267 Depth=3
	s_or_saveexec_b32 s24, s24
	v_mov_b32_e32 v74, 0x7f800001
	s_xor_b32 exec_lo, exec_lo, s24
	s_cbranch_execnz .LBB2_536
.LBB2_369:                              ;   in Loop: Header=BB2_267 Depth=3
	s_or_b32 exec_lo, exec_lo, s24
	s_and_saveexec_b32 s24, s11
	s_cbranch_execz .LBB2_371
.LBB2_370:                              ;   in Loop: Header=BB2_267 Depth=3
	v_bfe_u32 v74, v54, 24, 3
	v_bfe_u32 v77, v54, 27, 4
	v_ffbh_u32_e32 v75, v74
	v_cmp_eq_u32_e32 vcc_lo, 0, v77
	v_min_u32_e32 v75, 32, v75
	v_subrev_nc_u32_e32 v76, 28, v75
	v_sub_nc_u32_e32 v75, 29, v75
	v_lshlrev_b32_sdwa v76, v76, v54 dst_sel:DWORD dst_unused:UNUSED_PAD src0_sel:DWORD src1_sel:BYTE_3
	v_cndmask_b32_e32 v75, v77, v75, vcc_lo
	v_and_b32_e32 v54, 0x80000000, v54
	v_and_b32_e32 v76, 7, v76
	v_lshl_add_u32 v75, v75, 23, 0x3b800000
	v_cndmask_b32_e32 v74, v74, v76, vcc_lo
	v_lshlrev_b32_e32 v74, 20, v74
	v_or3_b32 v74, v54, v75, v74
.LBB2_371:                              ;   in Loop: Header=BB2_267 Depth=3
	s_or_b32 exec_lo, exec_lo, s24
	v_mul_f32_e32 v74, v0, v74
	v_and_b32_e32 v54, 0x7f800000, v74
	v_cmp_ne_u32_e32 vcc_lo, 0x7f800000, v54
	v_mov_b32_e32 v54, 0x8000
	s_and_saveexec_b32 s24, vcc_lo
	s_cbranch_execz .LBB2_379
; %bb.372:                              ;   in Loop: Header=BB2_267 Depth=3
	v_mov_b32_e32 v54, 0
	s_mov_b32 s25, exec_lo
	v_cmpx_ne_u32_e32 0, v74
	s_cbranch_execz .LBB2_378
; %bb.373:                              ;   in Loop: Header=BB2_267 Depth=3
	v_bfe_u32 v54, v74, 23, 8
	v_and_b32_e32 v75, 0x7fffff, v74
	v_sub_nc_u32_e32 v76, 0x78, v54
	v_cmp_gt_u32_e32 vcc_lo, 0x79, v54
	v_or_b32_e32 v77, 0x800000, v75
	v_cndmask_b32_e32 v76, 0, v76, vcc_lo
	v_cmp_eq_u32_e32 vcc_lo, 0, v54
	v_add_nc_u32_e32 v54, 0xffffff89, v54
	v_cndmask_b32_e64 v76, v76, 0x77, vcc_lo
	v_cndmask_b32_e32 v75, v77, v75, vcc_lo
	v_cndmask_b32_e64 v54, v54, 0xffffff8a, vcc_lo
	v_lshl_add_u32 v77, 0x100000, v76, -1
	v_lshrrev_b32_e32 v78, v76, v75
	v_lshlrev_b32_e64 v88, v76, 0x80000
	v_add_nc_u32_e32 v76, v76, v54
	v_and_b32_e32 v75, v77, v75
	v_bfe_u32 v79, v78, 20, 1
	v_cmp_eq_u32_e64 s11, v75, v88
	v_add_nc_u32_e32 v77, -1, v79
	v_cndmask_b32_e64 v75, 0, v77, s11
	v_lshrrev_b32_e32 v77, 23, v78
	s_mov_b32 s11, exec_lo
	v_add_nc_u32_e32 v75, v75, v78
	v_xor_b32_e32 v77, 1, v77
	v_and_b32_e32 v54, 0xfffff, v75
	v_add_nc_u32_e32 v75, v54, v78
                                        ; implicit-def: $vgpr54
	v_cmpx_ne_u32_e64 v76, v77
	s_xor_b32 s11, exec_lo, s11
; %bb.374:                              ;   in Loop: Header=BB2_267 Depth=3
	v_cmp_lt_u32_e32 vcc_lo, 0xffffff, v75
	v_sub_nc_u32_e32 v54, v76, v77
	v_cndmask_b32_e64 v76, 0, 1, vcc_lo
	v_add_co_ci_u32_e64 v54, null, 0, v54, vcc_lo
	v_lshrrev_b32_e32 v75, v76, v75
; %bb.375:                              ;   in Loop: Header=BB2_267 Depth=3
	s_andn2_saveexec_b32 s11, s11
; %bb.376:                              ;   in Loop: Header=BB2_267 Depth=3
	v_bfe_u32 v54, v75, 23, 1
; %bb.377:                              ;   in Loop: Header=BB2_267 Depth=3
	s_or_b32 exec_lo, exec_lo, s11
	v_lshrrev_b32_e32 v75, 20, v75
	v_min_i32_e32 v76, 15, v54
	v_cmp_gt_i32_e32 vcc_lo, 16, v54
	v_and_b32_sdwa v74, v74, v41 dst_sel:DWORD dst_unused:UNUSED_PAD src0_sel:BYTE_3 src1_sel:DWORD
	v_lshlrev_b32_e32 v76, 3, v76
	v_cndmask_b32_e32 v75, 7, v75, vcc_lo
	v_and_b32_e32 v76, 0xf8, v76
	v_and_b32_e32 v77, 7, v75
	v_or_b32_e32 v54, v54, v75
	v_or3_b32 v74, v74, v76, v77
	v_cmp_ne_u32_e32 vcc_lo, 0, v54
	v_lshlrev_b32_e32 v74, 8, v74
	v_cndmask_b32_e32 v54, 0, v74, vcc_lo
.LBB2_378:                              ;   in Loop: Header=BB2_267 Depth=3
	s_or_b32 exec_lo, exec_lo, s25
.LBB2_379:                              ;   in Loop: Header=BB2_267 Depth=3
	s_or_b32 exec_lo, exec_lo, s24
	v_cmp_gt_i16_sdwa s24, v19, v40 src0_sel:BYTE_0 src1_sel:DWORD
	s_mov_b32 s11, 0
	s_and_saveexec_b32 s25, s24
	s_xor_b32 s24, exec_lo, s25
	s_cbranch_execnz .LBB2_537
; %bb.380:                              ;   in Loop: Header=BB2_267 Depth=3
	s_or_saveexec_b32 s24, s24
	v_mov_b32_e32 v75, 0x7f800001
	s_xor_b32 exec_lo, exec_lo, s24
	s_cbranch_execnz .LBB2_540
.LBB2_381:                              ;   in Loop: Header=BB2_267 Depth=3
	s_or_b32 exec_lo, exec_lo, s24
	s_and_saveexec_b32 s24, s11
	s_cbranch_execz .LBB2_383
.LBB2_382:                              ;   in Loop: Header=BB2_267 Depth=3
	v_and_b32_e32 v74, 7, v19
	v_bfe_u32 v77, v19, 3, 4
	v_lshlrev_b32_e32 v78, 24, v19
	v_ffbh_u32_e32 v75, v74
	v_cmp_eq_u32_e32 vcc_lo, 0, v77
	v_min_u32_e32 v75, 32, v75
	v_subrev_nc_u32_e32 v76, 28, v75
	v_sub_nc_u32_e32 v75, 29, v75
	v_lshlrev_b32_e32 v76, v76, v19
	v_cndmask_b32_e32 v75, v77, v75, vcc_lo
	v_and_b32_e32 v76, 7, v76
	v_lshl_add_u32 v75, v75, 23, 0x3b800000
	v_cndmask_b32_e32 v74, v74, v76, vcc_lo
	v_and_b32_e32 v76, 0x80000000, v78
	v_lshlrev_b32_e32 v74, 20, v74
	v_or3_b32 v75, v76, v75, v74
.LBB2_383:                              ;   in Loop: Header=BB2_267 Depth=3
	s_or_b32 exec_lo, exec_lo, s24
	v_or_b32_e32 v74, v83, v17
	s_mov_b32 s11, 0
	v_cmp_gt_i16_sdwa s24, v74, v40 src0_sel:BYTE_0 src1_sel:DWORD
	s_and_saveexec_b32 s25, s24
	s_xor_b32 s24, exec_lo, s25
	s_cbranch_execnz .LBB2_541
; %bb.384:                              ;   in Loop: Header=BB2_267 Depth=3
	s_or_saveexec_b32 s24, s24
	v_mov_b32_e32 v17, 0x7f800001
	s_xor_b32 exec_lo, exec_lo, s24
	s_cbranch_execnz .LBB2_544
.LBB2_385:                              ;   in Loop: Header=BB2_267 Depth=3
	s_or_b32 exec_lo, exec_lo, s24
	s_and_saveexec_b32 s24, s11
	s_cbranch_execz .LBB2_387
.LBB2_386:                              ;   in Loop: Header=BB2_267 Depth=3
	v_and_b32_e32 v17, 7, v74
	v_bfe_u32 v77, v74, 3, 4
	v_lshlrev_b32_e32 v78, 24, v74
	v_ffbh_u32_e32 v83, v17
	v_cmp_eq_u32_e32 vcc_lo, 0, v77
	v_min_u32_e32 v83, 32, v83
	v_subrev_nc_u32_e32 v76, 28, v83
	v_sub_nc_u32_e32 v83, 29, v83
	v_lshlrev_b32_e32 v76, v76, v74
	v_cndmask_b32_e32 v83, v77, v83, vcc_lo
	v_and_b32_e32 v76, 7, v76
	v_lshl_add_u32 v83, v83, 23, 0x3b800000
	v_cndmask_b32_e32 v17, v17, v76, vcc_lo
	v_and_b32_e32 v76, 0x80000000, v78
	v_lshlrev_b32_e32 v17, 20, v17
	v_or3_b32 v17, v76, v83, v17
.LBB2_387:                              ;   in Loop: Header=BB2_267 Depth=3
	s_or_b32 exec_lo, exec_lo, s24
	v_add_f32_e32 v83, v75, v17
	v_and_b32_e32 v17, 0x7f800000, v83
	v_cmp_ne_u32_e32 vcc_lo, 0x7f800000, v17
	v_mov_b32_e32 v17, 0x80
	s_and_saveexec_b32 s24, vcc_lo
	s_cbranch_execz .LBB2_395
; %bb.388:                              ;   in Loop: Header=BB2_267 Depth=3
	v_mov_b32_e32 v17, 0
	s_mov_b32 s25, exec_lo
	v_cmpx_ne_u32_e32 0, v83
	s_cbranch_execz .LBB2_394
; %bb.389:                              ;   in Loop: Header=BB2_267 Depth=3
	v_bfe_u32 v17, v83, 23, 8
	v_and_b32_e32 v75, 0x7fffff, v83
	v_sub_nc_u32_e32 v76, 0x78, v17
	v_cmp_gt_u32_e32 vcc_lo, 0x79, v17
	v_or_b32_e32 v77, 0x800000, v75
	v_cndmask_b32_e32 v76, 0, v76, vcc_lo
	v_cmp_eq_u32_e32 vcc_lo, 0, v17
	v_add_nc_u32_e32 v17, 0xffffff89, v17
	v_cndmask_b32_e64 v76, v76, 0x77, vcc_lo
	v_cndmask_b32_e32 v75, v77, v75, vcc_lo
	v_cndmask_b32_e64 v17, v17, 0xffffff8a, vcc_lo
	v_lshl_add_u32 v77, 0x100000, v76, -1
	v_lshrrev_b32_e32 v78, v76, v75
	v_lshlrev_b32_e64 v88, v76, 0x80000
	v_add_nc_u32_e32 v76, v76, v17
	v_and_b32_e32 v75, v77, v75
	v_bfe_u32 v79, v78, 20, 1
	v_cmp_eq_u32_e64 s11, v75, v88
	v_add_nc_u32_e32 v77, -1, v79
	v_cndmask_b32_e64 v75, 0, v77, s11
	v_lshrrev_b32_e32 v77, 23, v78
	s_mov_b32 s11, exec_lo
	v_add_nc_u32_e32 v75, v75, v78
	v_xor_b32_e32 v77, 1, v77
	v_and_b32_e32 v17, 0xfffff, v75
	v_add_nc_u32_e32 v75, v17, v78
                                        ; implicit-def: $vgpr17
	v_cmpx_ne_u32_e64 v76, v77
	s_xor_b32 s11, exec_lo, s11
; %bb.390:                              ;   in Loop: Header=BB2_267 Depth=3
	v_cmp_lt_u32_e32 vcc_lo, 0xffffff, v75
	v_sub_nc_u32_e32 v17, v76, v77
	v_cndmask_b32_e64 v76, 0, 1, vcc_lo
	v_add_co_ci_u32_e64 v17, null, 0, v17, vcc_lo
	v_lshrrev_b32_e32 v75, v76, v75
; %bb.391:                              ;   in Loop: Header=BB2_267 Depth=3
	s_andn2_saveexec_b32 s11, s11
; %bb.392:                              ;   in Loop: Header=BB2_267 Depth=3
	v_bfe_u32 v17, v75, 23, 1
; %bb.393:                              ;   in Loop: Header=BB2_267 Depth=3
	s_or_b32 exec_lo, exec_lo, s11
	v_lshrrev_b32_e32 v75, 20, v75
	v_min_i32_e32 v76, 15, v17
	v_cmp_gt_i32_e32 vcc_lo, 16, v17
	v_and_b32_sdwa v83, v83, v41 dst_sel:DWORD dst_unused:UNUSED_PAD src0_sel:BYTE_3 src1_sel:DWORD
	v_lshlrev_b32_e32 v76, 3, v76
	v_cndmask_b32_e32 v75, 7, v75, vcc_lo
	v_and_b32_e32 v76, 0xf8, v76
	v_and_b32_e32 v77, 7, v75
	v_or_b32_e32 v17, v17, v75
	v_or3_b32 v83, v76, v83, v77
	v_cmp_ne_u32_e32 vcc_lo, 0, v17
	v_cndmask_b32_e32 v17, 0, v83, vcc_lo
.LBB2_394:                              ;   in Loop: Header=BB2_267 Depth=3
	s_or_b32 exec_lo, exec_lo, s25
.LBB2_395:                              ;   in Loop: Header=BB2_267 Depth=3
	s_or_b32 exec_lo, exec_lo, s24
	v_cmp_gt_i16_sdwa s24, v19, v40 src0_sel:BYTE_1 src1_sel:DWORD
	s_mov_b32 s11, 0
	s_and_saveexec_b32 s25, s24
	s_xor_b32 s24, exec_lo, s25
	s_cbranch_execnz .LBB2_545
; %bb.396:                              ;   in Loop: Header=BB2_267 Depth=3
	s_or_saveexec_b32 s24, s24
	v_mov_b32_e32 v83, 0x7f800001
	s_xor_b32 exec_lo, exec_lo, s24
	s_cbranch_execnz .LBB2_548
.LBB2_397:                              ;   in Loop: Header=BB2_267 Depth=3
	s_or_b32 exec_lo, exec_lo, s24
	s_and_saveexec_b32 s24, s11
	s_cbranch_execz .LBB2_399
.LBB2_398:                              ;   in Loop: Header=BB2_267 Depth=3
	v_and_b32_sdwa v83, v42, v19 dst_sel:DWORD dst_unused:UNUSED_PAD src0_sel:DWORD src1_sel:BYTE_1
	v_and_b32_e32 v75, 7, v83
	v_bfe_u32 v78, v83, 3, 4
	v_ffbh_u32_e32 v76, v75
	v_cmp_eq_u32_e32 vcc_lo, 0, v78
	v_min_u32_e32 v76, 32, v76
	v_subrev_nc_u32_e32 v77, 28, v76
	v_sub_nc_u32_e32 v76, 29, v76
	v_lshlrev_b32_e32 v83, v77, v83
	v_lshlrev_b32_sdwa v77, v43, v19 dst_sel:DWORD dst_unused:UNUSED_PAD src0_sel:DWORD src1_sel:BYTE_1
	v_cndmask_b32_e32 v76, v78, v76, vcc_lo
	v_and_b32_e32 v83, 7, v83
	v_lshl_add_u32 v76, v76, 23, 0x3b800000
	v_cndmask_b32_e32 v83, v75, v83, vcc_lo
	v_and_b32_e32 v75, 0x80000000, v77
	v_lshlrev_b32_e32 v83, 20, v83
	v_or3_b32 v83, v75, v76, v83
.LBB2_399:                              ;   in Loop: Header=BB2_267 Depth=3
	s_or_b32 exec_lo, exec_lo, s24
	v_cmp_gt_i16_sdwa s24, v74, v40 src0_sel:BYTE_1 src1_sel:DWORD
	s_mov_b32 s11, 0
	s_and_saveexec_b32 s25, s24
	s_xor_b32 s24, exec_lo, s25
	s_cbranch_execnz .LBB2_549
; %bb.400:                              ;   in Loop: Header=BB2_267 Depth=3
	s_or_saveexec_b32 s24, s24
	v_mov_b32_e32 v75, 0x7f800001
	s_xor_b32 exec_lo, exec_lo, s24
	s_cbranch_execnz .LBB2_552
.LBB2_401:                              ;   in Loop: Header=BB2_267 Depth=3
	s_or_b32 exec_lo, exec_lo, s24
	s_and_saveexec_b32 s24, s11
	s_cbranch_execz .LBB2_403
.LBB2_402:                              ;   in Loop: Header=BB2_267 Depth=3
	v_and_b32_sdwa v75, v42, v74 dst_sel:DWORD dst_unused:UNUSED_PAD src0_sel:DWORD src1_sel:BYTE_1
	v_and_b32_e32 v76, 7, v75
	v_bfe_u32 v79, v75, 3, 4
	v_ffbh_u32_e32 v77, v76
	v_cmp_eq_u32_e32 vcc_lo, 0, v79
	v_min_u32_e32 v77, 32, v77
	v_subrev_nc_u32_e32 v78, 28, v77
	v_sub_nc_u32_e32 v77, 29, v77
	v_lshlrev_b32_e32 v75, v78, v75
	v_lshlrev_b32_sdwa v78, v43, v74 dst_sel:DWORD dst_unused:UNUSED_PAD src0_sel:DWORD src1_sel:BYTE_1
	v_cndmask_b32_e32 v77, v79, v77, vcc_lo
	v_and_b32_e32 v75, 7, v75
	v_lshl_add_u32 v77, v77, 23, 0x3b800000
	v_cndmask_b32_e32 v75, v76, v75, vcc_lo
	v_and_b32_e32 v76, 0x80000000, v78
	v_lshlrev_b32_e32 v75, 20, v75
	v_or3_b32 v75, v76, v77, v75
.LBB2_403:                              ;   in Loop: Header=BB2_267 Depth=3
	s_or_b32 exec_lo, exec_lo, s24
	v_add_f32_e32 v75, v83, v75
	v_and_b32_e32 v83, 0x7f800000, v75
	v_cmp_ne_u32_e32 vcc_lo, 0x7f800000, v83
	v_mov_b32_e32 v83, 0x8000
	s_and_saveexec_b32 s24, vcc_lo
	s_cbranch_execz .LBB2_411
; %bb.404:                              ;   in Loop: Header=BB2_267 Depth=3
	v_mov_b32_e32 v83, 0
	s_mov_b32 s25, exec_lo
	v_cmpx_ne_u32_e32 0, v75
	s_cbranch_execz .LBB2_410
; %bb.405:                              ;   in Loop: Header=BB2_267 Depth=3
	v_bfe_u32 v83, v75, 23, 8
	v_and_b32_e32 v76, 0x7fffff, v75
	v_sub_nc_u32_e32 v77, 0x78, v83
	v_cmp_gt_u32_e32 vcc_lo, 0x79, v83
	v_or_b32_e32 v78, 0x800000, v76
	v_cndmask_b32_e32 v77, 0, v77, vcc_lo
	v_cmp_eq_u32_e32 vcc_lo, 0, v83
	v_add_nc_u32_e32 v83, 0xffffff89, v83
	v_cndmask_b32_e64 v77, v77, 0x77, vcc_lo
	v_cndmask_b32_e32 v76, v78, v76, vcc_lo
	v_cndmask_b32_e64 v83, v83, 0xffffff8a, vcc_lo
	v_lshl_add_u32 v78, 0x100000, v77, -1
	v_lshrrev_b32_e32 v79, v77, v76
	v_lshlrev_b32_e64 v89, v77, 0x80000
	v_add_nc_u32_e32 v77, v77, v83
	v_and_b32_e32 v76, v78, v76
	v_bfe_u32 v88, v79, 20, 1
	v_cmp_eq_u32_e64 s11, v76, v89
	v_add_nc_u32_e32 v78, -1, v88
	v_cndmask_b32_e64 v76, 0, v78, s11
	v_lshrrev_b32_e32 v78, 23, v79
	s_mov_b32 s11, exec_lo
	v_add_nc_u32_e32 v76, v76, v79
	v_xor_b32_e32 v78, 1, v78
	v_and_b32_e32 v83, 0xfffff, v76
	v_add_nc_u32_e32 v76, v83, v79
                                        ; implicit-def: $vgpr83
	v_cmpx_ne_u32_e64 v77, v78
	s_xor_b32 s11, exec_lo, s11
; %bb.406:                              ;   in Loop: Header=BB2_267 Depth=3
	v_cmp_lt_u32_e32 vcc_lo, 0xffffff, v76
	v_sub_nc_u32_e32 v83, v77, v78
	v_cndmask_b32_e64 v77, 0, 1, vcc_lo
	v_add_co_ci_u32_e64 v83, null, 0, v83, vcc_lo
	v_lshrrev_b32_e32 v76, v77, v76
; %bb.407:                              ;   in Loop: Header=BB2_267 Depth=3
	s_andn2_saveexec_b32 s11, s11
; %bb.408:                              ;   in Loop: Header=BB2_267 Depth=3
	v_bfe_u32 v83, v76, 23, 1
; %bb.409:                              ;   in Loop: Header=BB2_267 Depth=3
	s_or_b32 exec_lo, exec_lo, s11
	v_lshrrev_b32_e32 v76, 20, v76
	v_min_i32_e32 v77, 15, v83
	v_cmp_gt_i32_e32 vcc_lo, 16, v83
	v_and_b32_sdwa v75, v75, v41 dst_sel:DWORD dst_unused:UNUSED_PAD src0_sel:BYTE_3 src1_sel:DWORD
	v_lshlrev_b32_e32 v77, 3, v77
	v_cndmask_b32_e32 v76, 7, v76, vcc_lo
	v_and_b32_e32 v77, 0xf8, v77
	v_and_b32_e32 v78, 7, v76
	v_or_b32_e32 v83, v83, v76
	v_or3_b32 v75, v75, v77, v78
	v_cmp_ne_u32_e32 vcc_lo, 0, v83
	v_lshlrev_b32_e32 v75, 8, v75
	v_cndmask_b32_e32 v83, 0, v75, vcc_lo
.LBB2_410:                              ;   in Loop: Header=BB2_267 Depth=3
	s_or_b32 exec_lo, exec_lo, s25
.LBB2_411:                              ;   in Loop: Header=BB2_267 Depth=3
	s_or_b32 exec_lo, exec_lo, s24
	v_and_b32_sdwa v76, v19, v44 dst_sel:DWORD dst_unused:UNUSED_PAD src0_sel:WORD_1 src1_sel:DWORD
	s_mov_b32 s11, 0
	s_mov_b32 s24, exec_lo
	v_cmpx_lt_i16_e32 0x7f, v76
	s_xor_b32 s24, exec_lo, s24
	s_cbranch_execnz .LBB2_553
; %bb.412:                              ;   in Loop: Header=BB2_267 Depth=3
	s_or_saveexec_b32 s24, s24
	v_mov_b32_e32 v75, 0x7f800001
	s_xor_b32 exec_lo, exec_lo, s24
	s_cbranch_execnz .LBB2_556
.LBB2_413:                              ;   in Loop: Header=BB2_267 Depth=3
	s_or_b32 exec_lo, exec_lo, s24
	s_and_saveexec_b32 s24, s11
	s_cbranch_execz .LBB2_415
.LBB2_414:                              ;   in Loop: Header=BB2_267 Depth=3
	v_bfe_u32 v75, v19, 16, 3
	v_bfe_u32 v78, v19, 19, 4
	v_lshlrev_b32_e32 v79, 8, v19
	v_ffbh_u32_e32 v76, v75
	v_cmp_eq_u32_e32 vcc_lo, 0, v78
	v_min_u32_e32 v76, 32, v76
	v_subrev_nc_u32_e32 v77, 28, v76
	v_sub_nc_u32_e32 v76, 29, v76
	v_lshlrev_b32_sdwa v77, v77, v19 dst_sel:DWORD dst_unused:UNUSED_PAD src0_sel:DWORD src1_sel:WORD_1
	v_cndmask_b32_e32 v76, v78, v76, vcc_lo
	v_and_b32_e32 v77, 7, v77
	v_lshl_add_u32 v76, v76, 23, 0x3b800000
	v_cndmask_b32_e32 v75, v75, v77, vcc_lo
	v_and_b32_e32 v77, 0x80000000, v79
	v_lshlrev_b32_e32 v75, 20, v75
	v_or3_b32 v75, v77, v76, v75
.LBB2_415:                              ;   in Loop: Header=BB2_267 Depth=3
	s_or_b32 exec_lo, exec_lo, s24
	v_or_b32_e32 v96, v73, v96
	s_mov_b32 s11, 0
	v_cmp_gt_i16_sdwa s24, v96, v40 src0_sel:BYTE_0 src1_sel:DWORD
	s_and_saveexec_b32 s25, s24
	s_xor_b32 s24, exec_lo, s25
	s_cbranch_execnz .LBB2_557
; %bb.416:                              ;   in Loop: Header=BB2_267 Depth=3
	s_or_saveexec_b32 s24, s24
	v_mov_b32_e32 v76, 0x7f800001
	s_xor_b32 exec_lo, exec_lo, s24
	s_cbranch_execnz .LBB2_560
.LBB2_417:                              ;   in Loop: Header=BB2_267 Depth=3
	s_or_b32 exec_lo, exec_lo, s24
	v_lshl_or_b32 v73, v96, 16, v74
	s_and_saveexec_b32 s24, s11
	s_cbranch_execz .LBB2_419
.LBB2_418:                              ;   in Loop: Header=BB2_267 Depth=3
	v_bfe_u32 v96, v73, 16, 3
	v_bfe_u32 v77, v73, 19, 4
	v_lshlrev_b32_e32 v78, 8, v73
	v_ffbh_u32_e32 v74, v96
	v_cmp_eq_u32_e32 vcc_lo, 0, v77
	v_min_u32_e32 v74, 32, v74
	v_subrev_nc_u32_e32 v76, 28, v74
	v_sub_nc_u32_e32 v74, 29, v74
	v_lshlrev_b32_sdwa v76, v76, v73 dst_sel:DWORD dst_unused:UNUSED_PAD src0_sel:DWORD src1_sel:WORD_1
	v_cndmask_b32_e32 v74, v77, v74, vcc_lo
	v_and_b32_e32 v76, 7, v76
	v_lshl_add_u32 v74, v74, 23, 0x3b800000
	v_cndmask_b32_e32 v96, v96, v76, vcc_lo
	v_and_b32_e32 v76, 0x80000000, v78
	v_lshlrev_b32_e32 v96, 20, v96
	v_or3_b32 v76, v76, v74, v96
.LBB2_419:                              ;   in Loop: Header=BB2_267 Depth=3
	s_or_b32 exec_lo, exec_lo, s24
	v_add_f32_e32 v74, v75, v76
	v_and_b32_e32 v96, 0x7f800000, v74
	v_cmp_ne_u32_e32 vcc_lo, 0x7f800000, v96
	v_mov_b32_e32 v96, 0x80
	s_and_saveexec_b32 s24, vcc_lo
	s_cbranch_execz .LBB2_427
; %bb.420:                              ;   in Loop: Header=BB2_267 Depth=3
	v_mov_b32_e32 v96, 0
	s_mov_b32 s25, exec_lo
	v_cmpx_ne_u32_e32 0, v74
	s_cbranch_execz .LBB2_426
; %bb.421:                              ;   in Loop: Header=BB2_267 Depth=3
	v_bfe_u32 v96, v74, 23, 8
	v_and_b32_e32 v75, 0x7fffff, v74
	v_sub_nc_u32_e32 v76, 0x78, v96
	v_cmp_gt_u32_e32 vcc_lo, 0x79, v96
	v_or_b32_e32 v77, 0x800000, v75
	v_cndmask_b32_e32 v76, 0, v76, vcc_lo
	v_cmp_eq_u32_e32 vcc_lo, 0, v96
	v_add_nc_u32_e32 v96, 0xffffff89, v96
	v_cndmask_b32_e64 v76, v76, 0x77, vcc_lo
	v_cndmask_b32_e32 v75, v77, v75, vcc_lo
	v_cndmask_b32_e64 v96, v96, 0xffffff8a, vcc_lo
	v_lshl_add_u32 v77, 0x100000, v76, -1
	v_lshrrev_b32_e32 v78, v76, v75
	v_lshlrev_b32_e64 v88, v76, 0x80000
	v_add_nc_u32_e32 v76, v76, v96
	v_and_b32_e32 v75, v77, v75
	v_bfe_u32 v79, v78, 20, 1
	v_cmp_eq_u32_e64 s11, v75, v88
	v_add_nc_u32_e32 v77, -1, v79
	v_cndmask_b32_e64 v75, 0, v77, s11
	v_lshrrev_b32_e32 v77, 23, v78
	s_mov_b32 s11, exec_lo
	v_add_nc_u32_e32 v75, v75, v78
	v_xor_b32_e32 v77, 1, v77
	v_and_b32_e32 v96, 0xfffff, v75
	v_add_nc_u32_e32 v75, v96, v78
                                        ; implicit-def: $vgpr96
	v_cmpx_ne_u32_e64 v76, v77
	s_xor_b32 s11, exec_lo, s11
; %bb.422:                              ;   in Loop: Header=BB2_267 Depth=3
	v_cmp_lt_u32_e32 vcc_lo, 0xffffff, v75
	v_sub_nc_u32_e32 v96, v76, v77
	v_cndmask_b32_e64 v76, 0, 1, vcc_lo
	v_add_co_ci_u32_e64 v96, null, 0, v96, vcc_lo
	v_lshrrev_b32_e32 v75, v76, v75
; %bb.423:                              ;   in Loop: Header=BB2_267 Depth=3
	s_andn2_saveexec_b32 s11, s11
; %bb.424:                              ;   in Loop: Header=BB2_267 Depth=3
	v_bfe_u32 v96, v75, 23, 1
; %bb.425:                              ;   in Loop: Header=BB2_267 Depth=3
	s_or_b32 exec_lo, exec_lo, s11
	v_lshrrev_b32_e32 v75, 20, v75
	v_min_i32_e32 v76, 15, v96
	v_cmp_gt_i32_e32 vcc_lo, 16, v96
	v_and_b32_sdwa v74, v74, v41 dst_sel:DWORD dst_unused:UNUSED_PAD src0_sel:BYTE_3 src1_sel:DWORD
	v_lshlrev_b32_e32 v76, 3, v76
	v_cndmask_b32_e32 v75, 7, v75, vcc_lo
	v_and_b32_e32 v76, 0xf8, v76
	v_and_b32_e32 v77, 7, v75
	v_or_b32_e32 v96, v96, v75
	v_or3_b32 v74, v76, v74, v77
	v_cmp_ne_u32_e32 vcc_lo, 0, v96
	v_cndmask_b32_e32 v96, 0, v74, vcc_lo
.LBB2_426:                              ;   in Loop: Header=BB2_267 Depth=3
	s_or_b32 exec_lo, exec_lo, s25
.LBB2_427:                              ;   in Loop: Header=BB2_267 Depth=3
	s_or_b32 exec_lo, exec_lo, s24
	v_cmp_gt_i16_sdwa s24, v19, v40 src0_sel:BYTE_3 src1_sel:DWORD
	s_mov_b32 s11, 0
	s_and_saveexec_b32 s25, s24
	s_xor_b32 s24, exec_lo, s25
	s_cbranch_execnz .LBB2_561
; %bb.428:                              ;   in Loop: Header=BB2_267 Depth=3
	s_or_saveexec_b32 s24, s24
	v_mov_b32_e32 v74, 0x7f800001
	s_xor_b32 exec_lo, exec_lo, s24
	s_cbranch_execnz .LBB2_564
.LBB2_429:                              ;   in Loop: Header=BB2_267 Depth=3
	s_or_b32 exec_lo, exec_lo, s24
	s_and_saveexec_b32 s24, s11
	s_cbranch_execz .LBB2_431
.LBB2_430:                              ;   in Loop: Header=BB2_267 Depth=3
	v_bfe_u32 v74, v19, 24, 3
	v_bfe_u32 v77, v19, 27, 4
	v_ffbh_u32_e32 v75, v74
	v_cmp_eq_u32_e32 vcc_lo, 0, v77
	v_min_u32_e32 v75, 32, v75
	v_subrev_nc_u32_e32 v76, 28, v75
	v_sub_nc_u32_e32 v75, 29, v75
	v_lshlrev_b32_sdwa v76, v76, v19 dst_sel:DWORD dst_unused:UNUSED_PAD src0_sel:DWORD src1_sel:BYTE_3
	v_cndmask_b32_e32 v75, v77, v75, vcc_lo
	v_and_b32_e32 v19, 0x80000000, v19
	v_and_b32_e32 v76, 7, v76
	v_lshl_add_u32 v75, v75, 23, 0x3b800000
	v_cndmask_b32_e32 v74, v74, v76, vcc_lo
	v_lshlrev_b32_e32 v74, 20, v74
	v_or3_b32 v74, v19, v75, v74
.LBB2_431:                              ;   in Loop: Header=BB2_267 Depth=3
	s_or_b32 exec_lo, exec_lo, s24
	v_cmp_gt_i16_sdwa s24, v73, v40 src0_sel:BYTE_3 src1_sel:DWORD
	s_mov_b32 s11, 0
	s_and_saveexec_b32 s25, s24
	s_xor_b32 s24, exec_lo, s25
	s_cbranch_execnz .LBB2_565
; %bb.432:                              ;   in Loop: Header=BB2_267 Depth=3
	s_or_saveexec_b32 s24, s24
	v_mov_b32_e32 v19, 0x7f800001
	s_xor_b32 exec_lo, exec_lo, s24
	s_cbranch_execnz .LBB2_568
.LBB2_433:                              ;   in Loop: Header=BB2_267 Depth=3
	s_or_b32 exec_lo, exec_lo, s24
	s_and_saveexec_b32 s24, s11
	s_cbranch_execz .LBB2_435
.LBB2_434:                              ;   in Loop: Header=BB2_267 Depth=3
	v_bfe_u32 v19, v73, 24, 3
	v_bfe_u32 v77, v73, 27, 4
	v_ffbh_u32_e32 v75, v19
	v_cmp_eq_u32_e32 vcc_lo, 0, v77
	v_min_u32_e32 v75, 32, v75
	v_subrev_nc_u32_e32 v76, 28, v75
	v_sub_nc_u32_e32 v75, 29, v75
	v_lshlrev_b32_sdwa v76, v76, v73 dst_sel:DWORD dst_unused:UNUSED_PAD src0_sel:DWORD src1_sel:BYTE_3
	v_cndmask_b32_e32 v75, v77, v75, vcc_lo
	v_and_b32_e32 v73, 0x80000000, v73
	v_and_b32_e32 v76, 7, v76
	v_lshl_add_u32 v75, v75, 23, 0x3b800000
	v_cndmask_b32_e32 v19, v19, v76, vcc_lo
	v_lshlrev_b32_e32 v19, 20, v19
	v_or3_b32 v19, v73, v75, v19
.LBB2_435:                              ;   in Loop: Header=BB2_267 Depth=3
	s_or_b32 exec_lo, exec_lo, s24
	v_add_f32_e32 v73, v74, v19
	v_and_b32_e32 v19, 0x7f800000, v73
	v_cmp_ne_u32_e32 vcc_lo, 0x7f800000, v19
	v_mov_b32_e32 v19, 0x8000
	s_and_saveexec_b32 s24, vcc_lo
	s_cbranch_execz .LBB2_443
; %bb.436:                              ;   in Loop: Header=BB2_267 Depth=3
	v_mov_b32_e32 v19, 0
	s_mov_b32 s25, exec_lo
	v_cmpx_ne_u32_e32 0, v73
	s_cbranch_execz .LBB2_442
; %bb.437:                              ;   in Loop: Header=BB2_267 Depth=3
	v_bfe_u32 v19, v73, 23, 8
	v_and_b32_e32 v74, 0x7fffff, v73
	v_sub_nc_u32_e32 v75, 0x78, v19
	v_cmp_gt_u32_e32 vcc_lo, 0x79, v19
	v_or_b32_e32 v76, 0x800000, v74
	v_cndmask_b32_e32 v75, 0, v75, vcc_lo
	v_cmp_eq_u32_e32 vcc_lo, 0, v19
	v_add_nc_u32_e32 v19, 0xffffff89, v19
	v_cndmask_b32_e64 v75, v75, 0x77, vcc_lo
	v_cndmask_b32_e32 v74, v76, v74, vcc_lo
	v_cndmask_b32_e64 v19, v19, 0xffffff8a, vcc_lo
	v_lshl_add_u32 v76, 0x100000, v75, -1
	v_lshrrev_b32_e32 v77, v75, v74
	v_lshlrev_b32_e64 v79, v75, 0x80000
	v_add_nc_u32_e32 v75, v75, v19
	v_and_b32_e32 v74, v76, v74
	v_bfe_u32 v78, v77, 20, 1
	v_cmp_eq_u32_e64 s11, v74, v79
	v_add_nc_u32_e32 v76, -1, v78
	v_cndmask_b32_e64 v74, 0, v76, s11
	v_lshrrev_b32_e32 v76, 23, v77
	s_mov_b32 s11, exec_lo
	v_add_nc_u32_e32 v74, v74, v77
	v_xor_b32_e32 v76, 1, v76
	v_and_b32_e32 v19, 0xfffff, v74
	v_add_nc_u32_e32 v74, v19, v77
                                        ; implicit-def: $vgpr19
	v_cmpx_ne_u32_e64 v75, v76
	s_xor_b32 s11, exec_lo, s11
; %bb.438:                              ;   in Loop: Header=BB2_267 Depth=3
	v_cmp_lt_u32_e32 vcc_lo, 0xffffff, v74
	v_sub_nc_u32_e32 v19, v75, v76
	v_cndmask_b32_e64 v75, 0, 1, vcc_lo
	v_add_co_ci_u32_e64 v19, null, 0, v19, vcc_lo
	v_lshrrev_b32_e32 v74, v75, v74
; %bb.439:                              ;   in Loop: Header=BB2_267 Depth=3
	s_andn2_saveexec_b32 s11, s11
; %bb.440:                              ;   in Loop: Header=BB2_267 Depth=3
	v_bfe_u32 v19, v74, 23, 1
; %bb.441:                              ;   in Loop: Header=BB2_267 Depth=3
	s_or_b32 exec_lo, exec_lo, s11
	v_lshrrev_b32_e32 v74, 20, v74
	v_min_i32_e32 v75, 15, v19
	v_cmp_gt_i32_e32 vcc_lo, 16, v19
	v_and_b32_sdwa v73, v73, v41 dst_sel:DWORD dst_unused:UNUSED_PAD src0_sel:BYTE_3 src1_sel:DWORD
	v_lshlrev_b32_e32 v75, 3, v75
	v_cndmask_b32_e32 v74, 7, v74, vcc_lo
	v_and_b32_e32 v75, 0xf8, v75
	v_and_b32_e32 v76, 7, v74
	v_or_b32_e32 v19, v19, v74
	v_or3_b32 v73, v73, v75, v76
	v_cmp_ne_u32_e32 vcc_lo, 0, v19
	v_lshlrev_b32_e32 v73, 8, v73
	v_cndmask_b32_e32 v19, 0, v73, vcc_lo
.LBB2_442:                              ;   in Loop: Header=BB2_267 Depth=3
	s_or_b32 exec_lo, exec_lo, s25
.LBB2_443:                              ;   in Loop: Header=BB2_267 Depth=3
	s_or_b32 exec_lo, exec_lo, s24
	v_cmp_gt_i16_sdwa s24, v21, v40 src0_sel:BYTE_0 src1_sel:DWORD
	s_mov_b32 s11, 0
	s_and_saveexec_b32 s25, s24
	s_xor_b32 s24, exec_lo, s25
	s_cbranch_execnz .LBB2_569
; %bb.444:                              ;   in Loop: Header=BB2_267 Depth=3
	s_or_saveexec_b32 s24, s24
	v_mov_b32_e32 v73, 0x7f800001
	s_xor_b32 exec_lo, exec_lo, s24
	s_cbranch_execnz .LBB2_572
.LBB2_445:                              ;   in Loop: Header=BB2_267 Depth=3
	s_or_b32 exec_lo, exec_lo, s24
	s_and_saveexec_b32 s24, s11
	s_cbranch_execz .LBB2_447
.LBB2_446:                              ;   in Loop: Header=BB2_267 Depth=3
	v_and_b32_e32 v73, 7, v21
	v_bfe_u32 v76, v21, 3, 4
	v_lshlrev_b32_e32 v77, 24, v21
	v_ffbh_u32_e32 v74, v73
	v_cmp_eq_u32_e32 vcc_lo, 0, v76
	v_min_u32_e32 v74, 32, v74
	v_subrev_nc_u32_e32 v75, 28, v74
	v_sub_nc_u32_e32 v74, 29, v74
	v_lshlrev_b32_e32 v75, v75, v21
	v_cndmask_b32_e32 v74, v76, v74, vcc_lo
	v_and_b32_e32 v75, 7, v75
	v_lshl_add_u32 v74, v74, 23, 0x3b800000
	v_cndmask_b32_e32 v73, v73, v75, vcc_lo
	v_and_b32_e32 v75, 0x80000000, v77
	v_lshlrev_b32_e32 v73, 20, v73
	v_or3_b32 v73, v75, v74, v73
.LBB2_447:                              ;   in Loop: Header=BB2_267 Depth=3
	s_or_b32 exec_lo, exec_lo, s24
	v_or_b32_e32 v97, v97, v22
	s_mov_b32 s11, 0
	v_cmp_gt_i16_sdwa s24, v97, v40 src0_sel:BYTE_0 src1_sel:DWORD
	s_and_saveexec_b32 s25, s24
	s_xor_b32 s24, exec_lo, s25
	s_cbranch_execnz .LBB2_573
; %bb.448:                              ;   in Loop: Header=BB2_267 Depth=3
	s_or_saveexec_b32 s24, s24
	v_mov_b32_e32 v22, 0x7f800001
	s_xor_b32 exec_lo, exec_lo, s24
	s_cbranch_execnz .LBB2_576
.LBB2_449:                              ;   in Loop: Header=BB2_267 Depth=3
	s_or_b32 exec_lo, exec_lo, s24
	s_and_saveexec_b32 s24, s11
	s_cbranch_execz .LBB2_451
.LBB2_450:                              ;   in Loop: Header=BB2_267 Depth=3
	v_and_b32_e32 v22, 7, v97
	v_bfe_u32 v76, v97, 3, 4
	v_lshlrev_b32_e32 v77, 24, v97
	v_ffbh_u32_e32 v74, v22
	v_cmp_eq_u32_e32 vcc_lo, 0, v76
	v_min_u32_e32 v74, 32, v74
	v_subrev_nc_u32_e32 v75, 28, v74
	v_sub_nc_u32_e32 v74, 29, v74
	v_lshlrev_b32_e32 v75, v75, v97
	v_cndmask_b32_e32 v74, v76, v74, vcc_lo
	v_and_b32_e32 v75, 7, v75
	v_lshl_add_u32 v74, v74, 23, 0x3b800000
	v_cndmask_b32_e32 v22, v22, v75, vcc_lo
	v_and_b32_e32 v75, 0x80000000, v77
	v_lshlrev_b32_e32 v22, 20, v22
	v_or3_b32 v22, v75, v74, v22
.LBB2_451:                              ;   in Loop: Header=BB2_267 Depth=3
	s_or_b32 exec_lo, exec_lo, s24
	v_add_f32_e32 v73, v73, v22
	v_and_b32_e32 v22, 0x7f800000, v73
	v_cmp_ne_u32_e32 vcc_lo, 0x7f800000, v22
	v_mov_b32_e32 v22, 0x80
	s_and_saveexec_b32 s24, vcc_lo
	s_cbranch_execz .LBB2_459
; %bb.452:                              ;   in Loop: Header=BB2_267 Depth=3
	v_mov_b32_e32 v22, 0
	s_mov_b32 s25, exec_lo
	v_cmpx_ne_u32_e32 0, v73
	s_cbranch_execz .LBB2_458
; %bb.453:                              ;   in Loop: Header=BB2_267 Depth=3
	v_bfe_u32 v22, v73, 23, 8
	v_and_b32_e32 v74, 0x7fffff, v73
	v_sub_nc_u32_e32 v75, 0x78, v22
	v_cmp_gt_u32_e32 vcc_lo, 0x79, v22
	v_or_b32_e32 v76, 0x800000, v74
	v_cndmask_b32_e32 v75, 0, v75, vcc_lo
	v_cmp_eq_u32_e32 vcc_lo, 0, v22
	v_add_nc_u32_e32 v22, 0xffffff89, v22
	v_cndmask_b32_e64 v75, v75, 0x77, vcc_lo
	v_cndmask_b32_e32 v74, v76, v74, vcc_lo
	v_cndmask_b32_e64 v22, v22, 0xffffff8a, vcc_lo
	v_lshl_add_u32 v76, 0x100000, v75, -1
	v_lshrrev_b32_e32 v77, v75, v74
	v_lshlrev_b32_e64 v79, v75, 0x80000
	v_add_nc_u32_e32 v75, v75, v22
	v_and_b32_e32 v74, v76, v74
	v_bfe_u32 v78, v77, 20, 1
	v_cmp_eq_u32_e64 s11, v74, v79
	v_add_nc_u32_e32 v76, -1, v78
	v_cndmask_b32_e64 v74, 0, v76, s11
	v_lshrrev_b32_e32 v76, 23, v77
	s_mov_b32 s11, exec_lo
	v_add_nc_u32_e32 v74, v74, v77
	v_xor_b32_e32 v76, 1, v76
	v_and_b32_e32 v22, 0xfffff, v74
	v_add_nc_u32_e32 v74, v22, v77
                                        ; implicit-def: $vgpr22
	v_cmpx_ne_u32_e64 v75, v76
	s_xor_b32 s11, exec_lo, s11
; %bb.454:                              ;   in Loop: Header=BB2_267 Depth=3
	v_cmp_lt_u32_e32 vcc_lo, 0xffffff, v74
	v_sub_nc_u32_e32 v22, v75, v76
	v_cndmask_b32_e64 v75, 0, 1, vcc_lo
	v_add_co_ci_u32_e64 v22, null, 0, v22, vcc_lo
	v_lshrrev_b32_e32 v74, v75, v74
; %bb.455:                              ;   in Loop: Header=BB2_267 Depth=3
	s_andn2_saveexec_b32 s11, s11
; %bb.456:                              ;   in Loop: Header=BB2_267 Depth=3
	v_bfe_u32 v22, v74, 23, 1
; %bb.457:                              ;   in Loop: Header=BB2_267 Depth=3
	s_or_b32 exec_lo, exec_lo, s11
	v_lshrrev_b32_e32 v74, 20, v74
	v_min_i32_e32 v75, 15, v22
	v_cmp_gt_i32_e32 vcc_lo, 16, v22
	v_and_b32_sdwa v73, v73, v41 dst_sel:DWORD dst_unused:UNUSED_PAD src0_sel:BYTE_3 src1_sel:DWORD
	v_lshlrev_b32_e32 v75, 3, v75
	v_cndmask_b32_e32 v74, 7, v74, vcc_lo
	v_and_b32_e32 v75, 0xf8, v75
	v_and_b32_e32 v76, 7, v74
	v_or_b32_e32 v22, v22, v74
	v_or3_b32 v73, v75, v73, v76
	v_cmp_ne_u32_e32 vcc_lo, 0, v22
	v_cndmask_b32_e32 v22, 0, v73, vcc_lo
.LBB2_458:                              ;   in Loop: Header=BB2_267 Depth=3
	s_or_b32 exec_lo, exec_lo, s25
.LBB2_459:                              ;   in Loop: Header=BB2_267 Depth=3
	s_or_b32 exec_lo, exec_lo, s24
	v_cmp_gt_i16_sdwa s24, v21, v40 src0_sel:BYTE_1 src1_sel:DWORD
	s_mov_b32 s11, 0
	s_and_saveexec_b32 s25, s24
	s_xor_b32 s24, exec_lo, s25
	s_cbranch_execnz .LBB2_577
; %bb.460:                              ;   in Loop: Header=BB2_267 Depth=3
	s_or_saveexec_b32 s24, s24
	v_mov_b32_e32 v73, 0x7f800001
	s_xor_b32 exec_lo, exec_lo, s24
	s_cbranch_execnz .LBB2_580
.LBB2_461:                              ;   in Loop: Header=BB2_267 Depth=3
	s_or_b32 exec_lo, exec_lo, s24
	s_and_saveexec_b32 s24, s11
	s_cbranch_execz .LBB2_463
.LBB2_462:                              ;   in Loop: Header=BB2_267 Depth=3
	v_and_b32_sdwa v73, v42, v21 dst_sel:DWORD dst_unused:UNUSED_PAD src0_sel:DWORD src1_sel:BYTE_1
	v_and_b32_e32 v74, 7, v73
	v_bfe_u32 v77, v73, 3, 4
	v_ffbh_u32_e32 v75, v74
	v_cmp_eq_u32_e32 vcc_lo, 0, v77
	v_min_u32_e32 v75, 32, v75
	v_subrev_nc_u32_e32 v76, 28, v75
	v_sub_nc_u32_e32 v75, 29, v75
	v_lshlrev_b32_e32 v73, v76, v73
	v_lshlrev_b32_sdwa v76, v43, v21 dst_sel:DWORD dst_unused:UNUSED_PAD src0_sel:DWORD src1_sel:BYTE_1
	v_cndmask_b32_e32 v75, v77, v75, vcc_lo
	v_and_b32_e32 v73, 7, v73
	v_lshl_add_u32 v75, v75, 23, 0x3b800000
	v_cndmask_b32_e32 v73, v74, v73, vcc_lo
	v_and_b32_e32 v74, 0x80000000, v76
	v_lshlrev_b32_e32 v73, 20, v73
	v_or3_b32 v73, v74, v75, v73
.LBB2_463:                              ;   in Loop: Header=BB2_267 Depth=3
	s_or_b32 exec_lo, exec_lo, s24
	v_cmp_gt_i16_sdwa s24, v97, v40 src0_sel:BYTE_1 src1_sel:DWORD
	s_mov_b32 s11, 0
	s_and_saveexec_b32 s25, s24
	s_xor_b32 s24, exec_lo, s25
	s_cbranch_execnz .LBB2_581
; %bb.464:                              ;   in Loop: Header=BB2_267 Depth=3
	s_or_saveexec_b32 s24, s24
	v_mov_b32_e32 v74, 0x7f800001
	s_xor_b32 exec_lo, exec_lo, s24
	s_cbranch_execnz .LBB2_584
.LBB2_465:                              ;   in Loop: Header=BB2_267 Depth=3
	s_or_b32 exec_lo, exec_lo, s24
	s_and_saveexec_b32 s24, s11
	s_cbranch_execz .LBB2_467
.LBB2_466:                              ;   in Loop: Header=BB2_267 Depth=3
	v_and_b32_sdwa v74, v42, v97 dst_sel:DWORD dst_unused:UNUSED_PAD src0_sel:DWORD src1_sel:BYTE_1
	v_and_b32_e32 v75, 7, v74
	v_bfe_u32 v78, v74, 3, 4
	v_ffbh_u32_e32 v76, v75
	v_cmp_eq_u32_e32 vcc_lo, 0, v78
	v_min_u32_e32 v76, 32, v76
	v_subrev_nc_u32_e32 v77, 28, v76
	v_sub_nc_u32_e32 v76, 29, v76
	v_lshlrev_b32_e32 v74, v77, v74
	v_lshlrev_b32_sdwa v77, v43, v97 dst_sel:DWORD dst_unused:UNUSED_PAD src0_sel:DWORD src1_sel:BYTE_1
	v_cndmask_b32_e32 v76, v78, v76, vcc_lo
	v_and_b32_e32 v74, 7, v74
	v_lshl_add_u32 v76, v76, 23, 0x3b800000
	v_cndmask_b32_e32 v74, v75, v74, vcc_lo
	v_and_b32_e32 v75, 0x80000000, v77
	v_lshlrev_b32_e32 v74, 20, v74
	v_or3_b32 v74, v75, v76, v74
.LBB2_467:                              ;   in Loop: Header=BB2_267 Depth=3
	s_or_b32 exec_lo, exec_lo, s24
	v_add_f32_e32 v74, v73, v74
	v_and_b32_e32 v73, 0x7f800000, v74
	v_cmp_ne_u32_e32 vcc_lo, 0x7f800000, v73
	v_mov_b32_e32 v73, 0x8000
	s_and_saveexec_b32 s24, vcc_lo
	s_cbranch_execz .LBB2_475
; %bb.468:                              ;   in Loop: Header=BB2_267 Depth=3
	v_mov_b32_e32 v73, 0
	s_mov_b32 s25, exec_lo
	v_cmpx_ne_u32_e32 0, v74
	s_cbranch_execz .LBB2_474
; %bb.469:                              ;   in Loop: Header=BB2_267 Depth=3
	v_bfe_u32 v73, v74, 23, 8
	v_and_b32_e32 v75, 0x7fffff, v74
	v_sub_nc_u32_e32 v76, 0x78, v73
	v_cmp_gt_u32_e32 vcc_lo, 0x79, v73
	v_or_b32_e32 v77, 0x800000, v75
	v_cndmask_b32_e32 v76, 0, v76, vcc_lo
	v_cmp_eq_u32_e32 vcc_lo, 0, v73
	v_add_nc_u32_e32 v73, 0xffffff89, v73
	v_cndmask_b32_e64 v76, v76, 0x77, vcc_lo
	v_cndmask_b32_e32 v75, v77, v75, vcc_lo
	v_cndmask_b32_e64 v73, v73, 0xffffff8a, vcc_lo
	v_lshl_add_u32 v77, 0x100000, v76, -1
	v_lshrrev_b32_e32 v78, v76, v75
	v_lshlrev_b32_e64 v88, v76, 0x80000
	v_add_nc_u32_e32 v76, v76, v73
	v_and_b32_e32 v75, v77, v75
	v_bfe_u32 v79, v78, 20, 1
	v_cmp_eq_u32_e64 s11, v75, v88
	v_add_nc_u32_e32 v77, -1, v79
	v_cndmask_b32_e64 v75, 0, v77, s11
	v_lshrrev_b32_e32 v77, 23, v78
	s_mov_b32 s11, exec_lo
	v_add_nc_u32_e32 v75, v75, v78
	v_xor_b32_e32 v77, 1, v77
	v_and_b32_e32 v73, 0xfffff, v75
	v_add_nc_u32_e32 v75, v73, v78
                                        ; implicit-def: $vgpr73
	v_cmpx_ne_u32_e64 v76, v77
	s_xor_b32 s11, exec_lo, s11
; %bb.470:                              ;   in Loop: Header=BB2_267 Depth=3
	v_cmp_lt_u32_e32 vcc_lo, 0xffffff, v75
	v_sub_nc_u32_e32 v73, v76, v77
	v_cndmask_b32_e64 v76, 0, 1, vcc_lo
	v_add_co_ci_u32_e64 v73, null, 0, v73, vcc_lo
	v_lshrrev_b32_e32 v75, v76, v75
; %bb.471:                              ;   in Loop: Header=BB2_267 Depth=3
	s_andn2_saveexec_b32 s11, s11
; %bb.472:                              ;   in Loop: Header=BB2_267 Depth=3
	v_bfe_u32 v73, v75, 23, 1
; %bb.473:                              ;   in Loop: Header=BB2_267 Depth=3
	s_or_b32 exec_lo, exec_lo, s11
	v_lshrrev_b32_e32 v75, 20, v75
	v_min_i32_e32 v76, 15, v73
	v_cmp_gt_i32_e32 vcc_lo, 16, v73
	v_and_b32_sdwa v74, v74, v41 dst_sel:DWORD dst_unused:UNUSED_PAD src0_sel:BYTE_3 src1_sel:DWORD
	v_lshlrev_b32_e32 v76, 3, v76
	v_cndmask_b32_e32 v75, 7, v75, vcc_lo
	v_and_b32_e32 v76, 0xf8, v76
	v_and_b32_e32 v77, 7, v75
	v_or_b32_e32 v73, v73, v75
	v_or3_b32 v74, v74, v76, v77
	v_cmp_ne_u32_e32 vcc_lo, 0, v73
	v_lshlrev_b32_e32 v74, 8, v74
	v_cndmask_b32_e32 v73, 0, v74, vcc_lo
.LBB2_474:                              ;   in Loop: Header=BB2_267 Depth=3
	s_or_b32 exec_lo, exec_lo, s25
.LBB2_475:                              ;   in Loop: Header=BB2_267 Depth=3
	s_or_b32 exec_lo, exec_lo, s24
	v_and_b32_sdwa v75, v21, v44 dst_sel:DWORD dst_unused:UNUSED_PAD src0_sel:WORD_1 src1_sel:DWORD
	s_mov_b32 s11, 0
	s_mov_b32 s24, exec_lo
	v_cmpx_lt_i16_e32 0x7f, v75
	s_xor_b32 s24, exec_lo, s24
	s_cbranch_execnz .LBB2_585
; %bb.476:                              ;   in Loop: Header=BB2_267 Depth=3
	s_or_saveexec_b32 s24, s24
	v_mov_b32_e32 v74, 0x7f800001
	s_xor_b32 exec_lo, exec_lo, s24
	s_cbranch_execnz .LBB2_588
.LBB2_477:                              ;   in Loop: Header=BB2_267 Depth=3
	s_or_b32 exec_lo, exec_lo, s24
	s_and_saveexec_b32 s24, s11
	s_cbranch_execz .LBB2_479
.LBB2_478:                              ;   in Loop: Header=BB2_267 Depth=3
	v_bfe_u32 v74, v21, 16, 3
	v_bfe_u32 v77, v21, 19, 4
	v_lshlrev_b32_e32 v78, 8, v21
	v_ffbh_u32_e32 v75, v74
	v_cmp_eq_u32_e32 vcc_lo, 0, v77
	v_min_u32_e32 v75, 32, v75
	v_subrev_nc_u32_e32 v76, 28, v75
	v_sub_nc_u32_e32 v75, 29, v75
	v_lshlrev_b32_sdwa v76, v76, v21 dst_sel:DWORD dst_unused:UNUSED_PAD src0_sel:DWORD src1_sel:WORD_1
	v_cndmask_b32_e32 v75, v77, v75, vcc_lo
	v_and_b32_e32 v76, 7, v76
	v_lshl_add_u32 v75, v75, 23, 0x3b800000
	v_cndmask_b32_e32 v74, v74, v76, vcc_lo
	v_and_b32_e32 v76, 0x80000000, v78
	v_lshlrev_b32_e32 v74, 20, v74
	v_or3_b32 v74, v76, v75, v74
.LBB2_479:                              ;   in Loop: Header=BB2_267 Depth=3
	s_or_b32 exec_lo, exec_lo, s24
	v_or_b32_e32 v20, v54, v20
	s_mov_b32 s11, 0
	v_cmp_gt_i16_sdwa s24, v20, v40 src0_sel:BYTE_0 src1_sel:DWORD
	s_and_saveexec_b32 s25, s24
	s_xor_b32 s24, exec_lo, s25
	s_cbranch_execnz .LBB2_589
; %bb.480:                              ;   in Loop: Header=BB2_267 Depth=3
	s_or_saveexec_b32 s24, s24
	v_mov_b32_e32 v75, 0x7f800001
	s_xor_b32 exec_lo, exec_lo, s24
	s_cbranch_execnz .LBB2_592
.LBB2_481:                              ;   in Loop: Header=BB2_267 Depth=3
	s_or_b32 exec_lo, exec_lo, s24
	v_lshl_or_b32 v54, v20, 16, v97
	s_and_saveexec_b32 s24, s11
	s_cbranch_execz .LBB2_483
.LBB2_482:                              ;   in Loop: Header=BB2_267 Depth=3
	v_bfe_u32 v20, v54, 16, 3
	v_bfe_u32 v76, v54, 19, 4
	v_lshlrev_b32_e32 v77, 8, v54
	v_ffbh_u32_e32 v97, v20
	v_cmp_eq_u32_e32 vcc_lo, 0, v76
	v_min_u32_e32 v97, 32, v97
	v_subrev_nc_u32_e32 v75, 28, v97
	v_sub_nc_u32_e32 v97, 29, v97
	v_lshlrev_b32_sdwa v75, v75, v54 dst_sel:DWORD dst_unused:UNUSED_PAD src0_sel:DWORD src1_sel:WORD_1
	v_cndmask_b32_e32 v97, v76, v97, vcc_lo
	v_and_b32_e32 v75, 7, v75
	v_lshl_add_u32 v97, v97, 23, 0x3b800000
	v_cndmask_b32_e32 v20, v20, v75, vcc_lo
	v_and_b32_e32 v75, 0x80000000, v77
	v_lshlrev_b32_e32 v20, 20, v20
	v_or3_b32 v75, v75, v97, v20
.LBB2_483:                              ;   in Loop: Header=BB2_267 Depth=3
	s_or_b32 exec_lo, exec_lo, s24
	v_add_f32_e32 v97, v74, v75
	v_and_b32_e32 v20, 0x7f800000, v97
	v_cmp_ne_u32_e32 vcc_lo, 0x7f800000, v20
	v_mov_b32_e32 v20, 0x80
	s_and_saveexec_b32 s24, vcc_lo
	s_cbranch_execz .LBB2_491
; %bb.484:                              ;   in Loop: Header=BB2_267 Depth=3
	v_mov_b32_e32 v20, 0
	s_mov_b32 s25, exec_lo
	v_cmpx_ne_u32_e32 0, v97
	s_cbranch_execz .LBB2_490
; %bb.485:                              ;   in Loop: Header=BB2_267 Depth=3
	v_bfe_u32 v20, v97, 23, 8
	v_and_b32_e32 v74, 0x7fffff, v97
	v_sub_nc_u32_e32 v75, 0x78, v20
	v_cmp_gt_u32_e32 vcc_lo, 0x79, v20
	v_or_b32_e32 v76, 0x800000, v74
	v_cndmask_b32_e32 v75, 0, v75, vcc_lo
	v_cmp_eq_u32_e32 vcc_lo, 0, v20
	v_add_nc_u32_e32 v20, 0xffffff89, v20
	v_cndmask_b32_e64 v75, v75, 0x77, vcc_lo
	v_cndmask_b32_e32 v74, v76, v74, vcc_lo
	v_cndmask_b32_e64 v20, v20, 0xffffff8a, vcc_lo
	v_lshl_add_u32 v76, 0x100000, v75, -1
	v_lshrrev_b32_e32 v77, v75, v74
	v_lshlrev_b32_e64 v79, v75, 0x80000
	v_add_nc_u32_e32 v75, v75, v20
	v_and_b32_e32 v74, v76, v74
	v_bfe_u32 v78, v77, 20, 1
	v_cmp_eq_u32_e64 s11, v74, v79
	v_add_nc_u32_e32 v76, -1, v78
	v_cndmask_b32_e64 v74, 0, v76, s11
	v_lshrrev_b32_e32 v76, 23, v77
	s_mov_b32 s11, exec_lo
	v_add_nc_u32_e32 v74, v74, v77
	v_xor_b32_e32 v76, 1, v76
	v_and_b32_e32 v20, 0xfffff, v74
	v_add_nc_u32_e32 v74, v20, v77
                                        ; implicit-def: $vgpr20
	v_cmpx_ne_u32_e64 v75, v76
	s_xor_b32 s11, exec_lo, s11
; %bb.486:                              ;   in Loop: Header=BB2_267 Depth=3
	v_cmp_lt_u32_e32 vcc_lo, 0xffffff, v74
	v_sub_nc_u32_e32 v20, v75, v76
	v_cndmask_b32_e64 v75, 0, 1, vcc_lo
	v_add_co_ci_u32_e64 v20, null, 0, v20, vcc_lo
	v_lshrrev_b32_e32 v74, v75, v74
; %bb.487:                              ;   in Loop: Header=BB2_267 Depth=3
	s_andn2_saveexec_b32 s11, s11
; %bb.488:                              ;   in Loop: Header=BB2_267 Depth=3
	v_bfe_u32 v20, v74, 23, 1
; %bb.489:                              ;   in Loop: Header=BB2_267 Depth=3
	s_or_b32 exec_lo, exec_lo, s11
	v_lshrrev_b32_e32 v74, 20, v74
	v_min_i32_e32 v75, 15, v20
	v_cmp_gt_i32_e32 vcc_lo, 16, v20
	v_and_b32_sdwa v97, v97, v41 dst_sel:DWORD dst_unused:UNUSED_PAD src0_sel:BYTE_3 src1_sel:DWORD
	v_lshlrev_b32_e32 v75, 3, v75
	v_cndmask_b32_e32 v74, 7, v74, vcc_lo
	v_and_b32_e32 v75, 0xf8, v75
	v_and_b32_e32 v76, 7, v74
	v_or_b32_e32 v20, v20, v74
	v_or3_b32 v97, v75, v97, v76
	v_cmp_ne_u32_e32 vcc_lo, 0, v20
	v_cndmask_b32_e32 v20, 0, v97, vcc_lo
.LBB2_490:                              ;   in Loop: Header=BB2_267 Depth=3
	s_or_b32 exec_lo, exec_lo, s25
.LBB2_491:                              ;   in Loop: Header=BB2_267 Depth=3
	s_or_b32 exec_lo, exec_lo, s24
	v_cmp_gt_i16_sdwa s24, v21, v40 src0_sel:BYTE_3 src1_sel:DWORD
	s_mov_b32 s11, 0
	s_and_saveexec_b32 s25, s24
	s_xor_b32 s24, exec_lo, s25
	s_cbranch_execnz .LBB2_593
; %bb.492:                              ;   in Loop: Header=BB2_267 Depth=3
	s_or_saveexec_b32 s24, s24
	v_mov_b32_e32 v97, 0x7f800001
	s_xor_b32 exec_lo, exec_lo, s24
	s_cbranch_execnz .LBB2_596
.LBB2_493:                              ;   in Loop: Header=BB2_267 Depth=3
	s_or_b32 exec_lo, exec_lo, s24
	s_and_saveexec_b32 s24, s11
	s_cbranch_execz .LBB2_495
.LBB2_494:                              ;   in Loop: Header=BB2_267 Depth=3
	v_bfe_u32 v97, v21, 24, 3
	v_bfe_u32 v76, v21, 27, 4
	v_ffbh_u32_e32 v74, v97
	v_cmp_eq_u32_e32 vcc_lo, 0, v76
	v_min_u32_e32 v74, 32, v74
	v_subrev_nc_u32_e32 v75, 28, v74
	v_sub_nc_u32_e32 v74, 29, v74
	v_lshlrev_b32_sdwa v75, v75, v21 dst_sel:DWORD dst_unused:UNUSED_PAD src0_sel:DWORD src1_sel:BYTE_3
	v_cndmask_b32_e32 v74, v76, v74, vcc_lo
	v_and_b32_e32 v21, 0x80000000, v21
	v_and_b32_e32 v75, 7, v75
	v_lshl_add_u32 v74, v74, 23, 0x3b800000
	v_cndmask_b32_e32 v97, v97, v75, vcc_lo
	v_lshlrev_b32_e32 v97, 20, v97
	v_or3_b32 v97, v21, v74, v97
.LBB2_495:                              ;   in Loop: Header=BB2_267 Depth=3
	s_or_b32 exec_lo, exec_lo, s24
	v_cmp_gt_i16_sdwa s24, v54, v40 src0_sel:BYTE_3 src1_sel:DWORD
	s_mov_b32 s11, 0
	s_and_saveexec_b32 s25, s24
	s_xor_b32 s24, exec_lo, s25
	s_cbranch_execnz .LBB2_597
; %bb.496:                              ;   in Loop: Header=BB2_267 Depth=3
	s_or_saveexec_b32 s24, s24
	v_mov_b32_e32 v21, 0x7f800001
	s_xor_b32 exec_lo, exec_lo, s24
	s_cbranch_execnz .LBB2_600
.LBB2_497:                              ;   in Loop: Header=BB2_267 Depth=3
	s_or_b32 exec_lo, exec_lo, s24
	s_and_saveexec_b32 s24, s11
	s_cbranch_execz .LBB2_499
.LBB2_498:                              ;   in Loop: Header=BB2_267 Depth=3
	v_bfe_u32 v21, v54, 24, 3
	v_bfe_u32 v76, v54, 27, 4
	v_ffbh_u32_e32 v74, v21
	v_cmp_eq_u32_e32 vcc_lo, 0, v76
	v_min_u32_e32 v74, 32, v74
	v_subrev_nc_u32_e32 v75, 28, v74
	v_sub_nc_u32_e32 v74, 29, v74
	v_lshlrev_b32_sdwa v75, v75, v54 dst_sel:DWORD dst_unused:UNUSED_PAD src0_sel:DWORD src1_sel:BYTE_3
	v_cndmask_b32_e32 v74, v76, v74, vcc_lo
	v_and_b32_e32 v54, 0x80000000, v54
	v_and_b32_e32 v75, 7, v75
	v_lshl_add_u32 v74, v74, 23, 0x3b800000
	v_cndmask_b32_e32 v21, v21, v75, vcc_lo
	v_lshlrev_b32_e32 v21, 20, v21
	v_or3_b32 v21, v54, v74, v21
.LBB2_499:                              ;   in Loop: Header=BB2_267 Depth=3
	s_or_b32 exec_lo, exec_lo, s24
	v_add_f32_e32 v21, v97, v21
	v_and_b32_e32 v54, 0x7f800000, v21
	v_cmp_ne_u32_e32 vcc_lo, 0x7f800000, v54
	v_mov_b32_e32 v54, 0x8000
	s_and_saveexec_b32 s24, vcc_lo
	s_cbranch_execz .LBB2_266
; %bb.500:                              ;   in Loop: Header=BB2_267 Depth=3
	v_mov_b32_e32 v54, 0
	s_mov_b32 s25, exec_lo
	v_cmpx_ne_u32_e32 0, v21
	s_cbranch_execz .LBB2_265
; %bb.501:                              ;   in Loop: Header=BB2_267 Depth=3
	v_bfe_u32 v54, v21, 23, 8
	v_and_b32_e32 v97, 0x7fffff, v21
	v_sub_nc_u32_e32 v74, 0x78, v54
	v_cmp_gt_u32_e32 vcc_lo, 0x79, v54
	v_or_b32_e32 v75, 0x800000, v97
	v_cndmask_b32_e32 v74, 0, v74, vcc_lo
	v_cmp_eq_u32_e32 vcc_lo, 0, v54
	v_add_nc_u32_e32 v54, 0xffffff89, v54
	v_cndmask_b32_e64 v74, v74, 0x77, vcc_lo
	v_cndmask_b32_e32 v97, v75, v97, vcc_lo
	v_cndmask_b32_e64 v54, v54, 0xffffff8a, vcc_lo
	v_lshl_add_u32 v75, 0x100000, v74, -1
	v_lshrrev_b32_e32 v76, v74, v97
	v_lshlrev_b32_e64 v78, v74, 0x80000
	v_add_nc_u32_e32 v74, v74, v54
	v_and_b32_e32 v97, v75, v97
	v_bfe_u32 v77, v76, 20, 1
	v_cmp_eq_u32_e64 s11, v97, v78
	v_add_nc_u32_e32 v75, -1, v77
	v_cndmask_b32_e64 v97, 0, v75, s11
	v_lshrrev_b32_e32 v75, 23, v76
	s_mov_b32 s11, exec_lo
	v_add_nc_u32_e32 v97, v97, v76
	v_xor_b32_e32 v75, 1, v75
	v_and_b32_e32 v54, 0xfffff, v97
	v_add_nc_u32_e32 v97, v54, v76
                                        ; implicit-def: $vgpr54
	v_cmpx_ne_u32_e64 v74, v75
	s_xor_b32 s11, exec_lo, s11
; %bb.502:                              ;   in Loop: Header=BB2_267 Depth=3
	v_cmp_lt_u32_e32 vcc_lo, 0xffffff, v97
	v_sub_nc_u32_e32 v54, v74, v75
	v_cndmask_b32_e64 v74, 0, 1, vcc_lo
	v_add_co_ci_u32_e64 v54, null, 0, v54, vcc_lo
	v_lshrrev_b32_e32 v97, v74, v97
; %bb.503:                              ;   in Loop: Header=BB2_267 Depth=3
	s_andn2_saveexec_b32 s11, s11
	s_cbranch_execz .LBB2_264
; %bb.504:                              ;   in Loop: Header=BB2_267 Depth=3
	v_bfe_u32 v54, v97, 23, 1
	s_branch .LBB2_264
.LBB2_505:                              ;   in Loop: Header=BB2_267 Depth=3
	v_cmp_eq_u16_sdwa s26, v22, v41 src0_sel:BYTE_0 src1_sel:DWORD
	s_mov_b32 s11, -1
	s_and_saveexec_b32 s25, s26
; %bb.506:                              ;   in Loop: Header=BB2_267 Depth=3
	s_xor_b32 s11, exec_lo, -1
; %bb.507:                              ;   in Loop: Header=BB2_267 Depth=3
	s_or_b32 exec_lo, exec_lo, s25
	s_and_b32 s11, s11, exec_lo
	s_or_saveexec_b32 s24, s24
	v_mov_b32_e32 v17, 0x7f800001
	s_xor_b32 exec_lo, exec_lo, s24
	s_cbranch_execz .LBB2_285
.LBB2_508:                              ;   in Loop: Header=BB2_267 Depth=3
	v_cmp_ne_u16_sdwa s25, v22, v55 src0_sel:BYTE_0 src1_sel:DWORD
	v_mov_b32_e32 v17, 0
	s_andn2_b32 s11, s11, exec_lo
	s_and_b32 s25, s25, exec_lo
	s_or_b32 s11, s11, s25
	s_or_b32 exec_lo, exec_lo, s24
	s_and_saveexec_b32 s24, s11
	s_cbranch_execnz .LBB2_286
	s_branch .LBB2_287
.LBB2_509:                              ;   in Loop: Header=BB2_267 Depth=3
	v_cmp_eq_u16_sdwa s26, v22, v41 src0_sel:BYTE_1 src1_sel:DWORD
	s_mov_b32 s11, -1
	s_and_saveexec_b32 s25, s26
; %bb.510:                              ;   in Loop: Header=BB2_267 Depth=3
	s_xor_b32 s11, exec_lo, -1
; %bb.511:                              ;   in Loop: Header=BB2_267 Depth=3
	s_or_b32 exec_lo, exec_lo, s25
	s_and_b32 s11, s11, exec_lo
	s_or_saveexec_b32 s24, s24
	v_mov_b32_e32 v54, 0x7f800001
	s_xor_b32 exec_lo, exec_lo, s24
	s_cbranch_execz .LBB2_297
.LBB2_512:                              ;   in Loop: Header=BB2_267 Depth=3
	v_cmp_ne_u16_sdwa s25, v22, v55 src0_sel:BYTE_1 src1_sel:DWORD
	v_mov_b32_e32 v54, 0
	s_andn2_b32 s11, s11, exec_lo
	s_and_b32 s25, s25, exec_lo
	s_or_b32 s11, s11, s25
	s_or_b32 exec_lo, exec_lo, s24
	s_and_saveexec_b32 s24, s11
	s_cbranch_execnz .LBB2_298
	s_branch .LBB2_299
.LBB2_513:                              ;   in Loop: Header=BB2_267 Depth=3
	s_mov_b32 s11, -1
	s_mov_b32 s25, exec_lo
	v_cmpx_eq_u16_e32 0x80, v96
; %bb.514:                              ;   in Loop: Header=BB2_267 Depth=3
	s_xor_b32 s11, exec_lo, -1
; %bb.515:                              ;   in Loop: Header=BB2_267 Depth=3
	s_or_b32 exec_lo, exec_lo, s25
	s_and_b32 s11, s11, exec_lo
                                        ; implicit-def: $vgpr96
	s_or_saveexec_b32 s24, s24
	v_mov_b32_e32 v54, 0x7f800001
	s_xor_b32 exec_lo, exec_lo, s24
	s_cbranch_execz .LBB2_309
.LBB2_516:                              ;   in Loop: Header=BB2_267 Depth=3
	v_cmp_ne_u16_e32 vcc_lo, 0, v96
	v_mov_b32_e32 v54, 0
	s_andn2_b32 s11, s11, exec_lo
	s_and_b32 s25, vcc_lo, exec_lo
	s_or_b32 s11, s11, s25
	s_or_b32 exec_lo, exec_lo, s24
	s_and_saveexec_b32 s24, s11
	s_cbranch_execnz .LBB2_310
	s_branch .LBB2_311
.LBB2_517:                              ;   in Loop: Header=BB2_267 Depth=3
	v_cmp_eq_u16_sdwa s26, v22, v41 src0_sel:BYTE_3 src1_sel:DWORD
	s_mov_b32 s11, -1
	s_and_saveexec_b32 s25, s26
; %bb.518:                              ;   in Loop: Header=BB2_267 Depth=3
	s_xor_b32 s11, exec_lo, -1
; %bb.519:                              ;   in Loop: Header=BB2_267 Depth=3
	s_or_b32 exec_lo, exec_lo, s25
	s_and_b32 s11, s11, exec_lo
	s_or_saveexec_b32 s24, s24
	v_mov_b32_e32 v54, 0x7f800001
	s_xor_b32 exec_lo, exec_lo, s24
	s_cbranch_execz .LBB2_321
.LBB2_520:                              ;   in Loop: Header=BB2_267 Depth=3
	v_cmp_ne_u16_sdwa s25, v22, v55 src0_sel:BYTE_3 src1_sel:DWORD
	v_mov_b32_e32 v54, 0
	s_andn2_b32 s11, s11, exec_lo
	s_and_b32 s25, s25, exec_lo
	s_or_b32 s11, s11, s25
	s_or_b32 exec_lo, exec_lo, s24
	s_and_saveexec_b32 s24, s11
	s_cbranch_execnz .LBB2_322
	s_branch .LBB2_323
.LBB2_521:                              ;   in Loop: Header=BB2_267 Depth=3
	v_cmp_eq_u16_sdwa s26, v54, v41 src0_sel:BYTE_0 src1_sel:DWORD
	s_mov_b32 s11, -1
	s_and_saveexec_b32 s25, s26
; %bb.522:                              ;   in Loop: Header=BB2_267 Depth=3
	s_xor_b32 s11, exec_lo, -1
; %bb.523:                              ;   in Loop: Header=BB2_267 Depth=3
	s_or_b32 exec_lo, exec_lo, s25
	s_and_b32 s11, s11, exec_lo
	s_or_saveexec_b32 s24, s24
	v_mov_b32_e32 v20, 0x7f800001
	s_xor_b32 exec_lo, exec_lo, s24
	s_cbranch_execz .LBB2_333
.LBB2_524:                              ;   in Loop: Header=BB2_267 Depth=3
	v_cmp_ne_u16_sdwa s25, v54, v55 src0_sel:BYTE_0 src1_sel:DWORD
	v_mov_b32_e32 v20, 0
	s_andn2_b32 s11, s11, exec_lo
	s_and_b32 s25, s25, exec_lo
	s_or_b32 s11, s11, s25
	s_or_b32 exec_lo, exec_lo, s24
	s_and_saveexec_b32 s24, s11
	s_cbranch_execnz .LBB2_334
	s_branch .LBB2_335
.LBB2_525:                              ;   in Loop: Header=BB2_267 Depth=3
	v_cmp_eq_u16_sdwa s26, v54, v41 src0_sel:BYTE_1 src1_sel:DWORD
	s_mov_b32 s11, -1
	s_and_saveexec_b32 s25, s26
; %bb.526:                              ;   in Loop: Header=BB2_267 Depth=3
	s_xor_b32 s11, exec_lo, -1
; %bb.527:                              ;   in Loop: Header=BB2_267 Depth=3
	s_or_b32 exec_lo, exec_lo, s25
	s_and_b32 s11, s11, exec_lo
	s_or_saveexec_b32 s24, s24
	v_mov_b32_e32 v20, 0x7f800001
	s_xor_b32 exec_lo, exec_lo, s24
	s_cbranch_execz .LBB2_345
.LBB2_528:                              ;   in Loop: Header=BB2_267 Depth=3
	v_cmp_ne_u16_sdwa s25, v54, v55 src0_sel:BYTE_1 src1_sel:DWORD
	v_mov_b32_e32 v20, 0
	s_andn2_b32 s11, s11, exec_lo
	s_and_b32 s25, s25, exec_lo
	s_or_b32 s11, s11, s25
	s_or_b32 exec_lo, exec_lo, s24
	s_and_saveexec_b32 s24, s11
	s_cbranch_execnz .LBB2_346
	s_branch .LBB2_347
.LBB2_529:                              ;   in Loop: Header=BB2_267 Depth=3
	s_mov_b32 s11, -1
	s_mov_b32 s25, exec_lo
	v_cmpx_eq_u16_e32 0x80, v74
; %bb.530:                              ;   in Loop: Header=BB2_267 Depth=3
	s_xor_b32 s11, exec_lo, -1
; %bb.531:                              ;   in Loop: Header=BB2_267 Depth=3
	s_or_b32 exec_lo, exec_lo, s25
	s_and_b32 s11, s11, exec_lo
                                        ; implicit-def: $vgpr74
	s_or_saveexec_b32 s24, s24
	v_mov_b32_e32 v20, 0x7f800001
	s_xor_b32 exec_lo, exec_lo, s24
	s_cbranch_execz .LBB2_357
.LBB2_532:                              ;   in Loop: Header=BB2_267 Depth=3
	v_cmp_ne_u16_e32 vcc_lo, 0, v74
	v_mov_b32_e32 v20, 0
	s_andn2_b32 s11, s11, exec_lo
	s_and_b32 s25, vcc_lo, exec_lo
	s_or_b32 s11, s11, s25
	s_or_b32 exec_lo, exec_lo, s24
	s_and_saveexec_b32 s24, s11
	s_cbranch_execnz .LBB2_358
	s_branch .LBB2_359
.LBB2_533:                              ;   in Loop: Header=BB2_267 Depth=3
	v_cmp_eq_u16_sdwa s26, v54, v41 src0_sel:BYTE_3 src1_sel:DWORD
	s_mov_b32 s11, -1
	s_and_saveexec_b32 s25, s26
; %bb.534:                              ;   in Loop: Header=BB2_267 Depth=3
	s_xor_b32 s11, exec_lo, -1
; %bb.535:                              ;   in Loop: Header=BB2_267 Depth=3
	s_or_b32 exec_lo, exec_lo, s25
	s_and_b32 s11, s11, exec_lo
	s_or_saveexec_b32 s24, s24
	v_mov_b32_e32 v74, 0x7f800001
	s_xor_b32 exec_lo, exec_lo, s24
	s_cbranch_execz .LBB2_369
.LBB2_536:                              ;   in Loop: Header=BB2_267 Depth=3
	v_cmp_ne_u16_sdwa s25, v54, v55 src0_sel:BYTE_3 src1_sel:DWORD
	v_mov_b32_e32 v74, 0
	s_andn2_b32 s11, s11, exec_lo
	s_and_b32 s25, s25, exec_lo
	s_or_b32 s11, s11, s25
	s_or_b32 exec_lo, exec_lo, s24
	s_and_saveexec_b32 s24, s11
	s_cbranch_execnz .LBB2_370
	s_branch .LBB2_371
.LBB2_537:                              ;   in Loop: Header=BB2_267 Depth=3
	v_cmp_eq_u16_sdwa s26, v19, v41 src0_sel:BYTE_0 src1_sel:DWORD
	s_mov_b32 s11, -1
	s_and_saveexec_b32 s25, s26
; %bb.538:                              ;   in Loop: Header=BB2_267 Depth=3
	s_xor_b32 s11, exec_lo, -1
; %bb.539:                              ;   in Loop: Header=BB2_267 Depth=3
	s_or_b32 exec_lo, exec_lo, s25
	s_and_b32 s11, s11, exec_lo
	s_or_saveexec_b32 s24, s24
	v_mov_b32_e32 v75, 0x7f800001
	s_xor_b32 exec_lo, exec_lo, s24
	s_cbranch_execz .LBB2_381
.LBB2_540:                              ;   in Loop: Header=BB2_267 Depth=3
	v_cmp_ne_u16_sdwa s25, v19, v55 src0_sel:BYTE_0 src1_sel:DWORD
	v_mov_b32_e32 v75, 0
	s_andn2_b32 s11, s11, exec_lo
	s_and_b32 s25, s25, exec_lo
	s_or_b32 s11, s11, s25
	s_or_b32 exec_lo, exec_lo, s24
	s_and_saveexec_b32 s24, s11
	s_cbranch_execnz .LBB2_382
	s_branch .LBB2_383
.LBB2_541:                              ;   in Loop: Header=BB2_267 Depth=3
	v_cmp_eq_u16_sdwa s26, v74, v41 src0_sel:BYTE_0 src1_sel:DWORD
	s_mov_b32 s11, -1
	s_and_saveexec_b32 s25, s26
; %bb.542:                              ;   in Loop: Header=BB2_267 Depth=3
	s_xor_b32 s11, exec_lo, -1
; %bb.543:                              ;   in Loop: Header=BB2_267 Depth=3
	s_or_b32 exec_lo, exec_lo, s25
	s_and_b32 s11, s11, exec_lo
	s_or_saveexec_b32 s24, s24
	v_mov_b32_e32 v17, 0x7f800001
	s_xor_b32 exec_lo, exec_lo, s24
	s_cbranch_execz .LBB2_385
.LBB2_544:                              ;   in Loop: Header=BB2_267 Depth=3
	v_cmp_ne_u16_sdwa s25, v74, v55 src0_sel:BYTE_0 src1_sel:DWORD
	v_mov_b32_e32 v17, 0
	s_andn2_b32 s11, s11, exec_lo
	s_and_b32 s25, s25, exec_lo
	s_or_b32 s11, s11, s25
	s_or_b32 exec_lo, exec_lo, s24
	s_and_saveexec_b32 s24, s11
	s_cbranch_execnz .LBB2_386
	s_branch .LBB2_387
.LBB2_545:                              ;   in Loop: Header=BB2_267 Depth=3
	v_cmp_eq_u16_sdwa s26, v19, v41 src0_sel:BYTE_1 src1_sel:DWORD
	s_mov_b32 s11, -1
	s_and_saveexec_b32 s25, s26
; %bb.546:                              ;   in Loop: Header=BB2_267 Depth=3
	s_xor_b32 s11, exec_lo, -1
; %bb.547:                              ;   in Loop: Header=BB2_267 Depth=3
	s_or_b32 exec_lo, exec_lo, s25
	s_and_b32 s11, s11, exec_lo
	s_or_saveexec_b32 s24, s24
	v_mov_b32_e32 v83, 0x7f800001
	s_xor_b32 exec_lo, exec_lo, s24
	s_cbranch_execz .LBB2_397
.LBB2_548:                              ;   in Loop: Header=BB2_267 Depth=3
	v_cmp_ne_u16_sdwa s25, v19, v55 src0_sel:BYTE_1 src1_sel:DWORD
	v_mov_b32_e32 v83, 0
	s_andn2_b32 s11, s11, exec_lo
	s_and_b32 s25, s25, exec_lo
	s_or_b32 s11, s11, s25
	s_or_b32 exec_lo, exec_lo, s24
	s_and_saveexec_b32 s24, s11
	s_cbranch_execnz .LBB2_398
	s_branch .LBB2_399
.LBB2_549:                              ;   in Loop: Header=BB2_267 Depth=3
	v_cmp_eq_u16_sdwa s26, v74, v41 src0_sel:BYTE_1 src1_sel:DWORD
	s_mov_b32 s11, -1
	s_and_saveexec_b32 s25, s26
; %bb.550:                              ;   in Loop: Header=BB2_267 Depth=3
	s_xor_b32 s11, exec_lo, -1
; %bb.551:                              ;   in Loop: Header=BB2_267 Depth=3
	s_or_b32 exec_lo, exec_lo, s25
	s_and_b32 s11, s11, exec_lo
	s_or_saveexec_b32 s24, s24
	v_mov_b32_e32 v75, 0x7f800001
	s_xor_b32 exec_lo, exec_lo, s24
	s_cbranch_execz .LBB2_401
.LBB2_552:                              ;   in Loop: Header=BB2_267 Depth=3
	v_cmp_ne_u16_sdwa s25, v74, v55 src0_sel:BYTE_1 src1_sel:DWORD
	v_mov_b32_e32 v75, 0
	s_andn2_b32 s11, s11, exec_lo
	s_and_b32 s25, s25, exec_lo
	s_or_b32 s11, s11, s25
	s_or_b32 exec_lo, exec_lo, s24
	s_and_saveexec_b32 s24, s11
	s_cbranch_execnz .LBB2_402
	s_branch .LBB2_403
.LBB2_553:                              ;   in Loop: Header=BB2_267 Depth=3
	s_mov_b32 s11, -1
	s_mov_b32 s25, exec_lo
	v_cmpx_eq_u16_e32 0x80, v76
; %bb.554:                              ;   in Loop: Header=BB2_267 Depth=3
	s_xor_b32 s11, exec_lo, -1
; %bb.555:                              ;   in Loop: Header=BB2_267 Depth=3
	s_or_b32 exec_lo, exec_lo, s25
	s_and_b32 s11, s11, exec_lo
                                        ; implicit-def: $vgpr76
	s_or_saveexec_b32 s24, s24
	v_mov_b32_e32 v75, 0x7f800001
	s_xor_b32 exec_lo, exec_lo, s24
	s_cbranch_execz .LBB2_413
.LBB2_556:                              ;   in Loop: Header=BB2_267 Depth=3
	v_cmp_ne_u16_e32 vcc_lo, 0, v76
	v_mov_b32_e32 v75, 0
	s_andn2_b32 s11, s11, exec_lo
	s_and_b32 s25, vcc_lo, exec_lo
	s_or_b32 s11, s11, s25
	s_or_b32 exec_lo, exec_lo, s24
	s_and_saveexec_b32 s24, s11
	s_cbranch_execnz .LBB2_414
	s_branch .LBB2_415
.LBB2_557:                              ;   in Loop: Header=BB2_267 Depth=3
	v_cmp_eq_u16_sdwa s26, v96, v41 src0_sel:BYTE_0 src1_sel:DWORD
	s_mov_b32 s11, -1
	s_and_saveexec_b32 s25, s26
; %bb.558:                              ;   in Loop: Header=BB2_267 Depth=3
	s_xor_b32 s11, exec_lo, -1
; %bb.559:                              ;   in Loop: Header=BB2_267 Depth=3
	s_or_b32 exec_lo, exec_lo, s25
	s_and_b32 s11, s11, exec_lo
	s_or_saveexec_b32 s24, s24
	v_mov_b32_e32 v76, 0x7f800001
	s_xor_b32 exec_lo, exec_lo, s24
	s_cbranch_execz .LBB2_417
.LBB2_560:                              ;   in Loop: Header=BB2_267 Depth=3
	v_cmp_ne_u16_sdwa s25, v96, v55 src0_sel:BYTE_0 src1_sel:DWORD
	v_mov_b32_e32 v76, 0
	s_andn2_b32 s11, s11, exec_lo
	s_and_b32 s25, s25, exec_lo
	s_or_b32 s11, s11, s25
	s_or_b32 exec_lo, exec_lo, s24
	v_lshl_or_b32 v73, v96, 16, v74
	s_and_saveexec_b32 s24, s11
	s_cbranch_execnz .LBB2_418
	s_branch .LBB2_419
.LBB2_561:                              ;   in Loop: Header=BB2_267 Depth=3
	v_cmp_eq_u16_sdwa s26, v19, v41 src0_sel:BYTE_3 src1_sel:DWORD
	s_mov_b32 s11, -1
	s_and_saveexec_b32 s25, s26
; %bb.562:                              ;   in Loop: Header=BB2_267 Depth=3
	s_xor_b32 s11, exec_lo, -1
; %bb.563:                              ;   in Loop: Header=BB2_267 Depth=3
	s_or_b32 exec_lo, exec_lo, s25
	s_and_b32 s11, s11, exec_lo
	s_or_saveexec_b32 s24, s24
	v_mov_b32_e32 v74, 0x7f800001
	s_xor_b32 exec_lo, exec_lo, s24
	s_cbranch_execz .LBB2_429
.LBB2_564:                              ;   in Loop: Header=BB2_267 Depth=3
	v_cmp_ne_u16_sdwa s25, v19, v55 src0_sel:BYTE_3 src1_sel:DWORD
	v_mov_b32_e32 v74, 0
	s_andn2_b32 s11, s11, exec_lo
	s_and_b32 s25, s25, exec_lo
	s_or_b32 s11, s11, s25
	s_or_b32 exec_lo, exec_lo, s24
	s_and_saveexec_b32 s24, s11
	s_cbranch_execnz .LBB2_430
	s_branch .LBB2_431
.LBB2_565:                              ;   in Loop: Header=BB2_267 Depth=3
	v_cmp_eq_u16_sdwa s26, v73, v41 src0_sel:BYTE_3 src1_sel:DWORD
	s_mov_b32 s11, -1
	s_and_saveexec_b32 s25, s26
; %bb.566:                              ;   in Loop: Header=BB2_267 Depth=3
	s_xor_b32 s11, exec_lo, -1
; %bb.567:                              ;   in Loop: Header=BB2_267 Depth=3
	s_or_b32 exec_lo, exec_lo, s25
	s_and_b32 s11, s11, exec_lo
	s_or_saveexec_b32 s24, s24
	v_mov_b32_e32 v19, 0x7f800001
	s_xor_b32 exec_lo, exec_lo, s24
	s_cbranch_execz .LBB2_433
.LBB2_568:                              ;   in Loop: Header=BB2_267 Depth=3
	v_cmp_ne_u16_sdwa s25, v73, v55 src0_sel:BYTE_3 src1_sel:DWORD
	v_mov_b32_e32 v19, 0
	s_andn2_b32 s11, s11, exec_lo
	s_and_b32 s25, s25, exec_lo
	s_or_b32 s11, s11, s25
	s_or_b32 exec_lo, exec_lo, s24
	s_and_saveexec_b32 s24, s11
	s_cbranch_execnz .LBB2_434
	s_branch .LBB2_435
.LBB2_569:                              ;   in Loop: Header=BB2_267 Depth=3
	v_cmp_eq_u16_sdwa s26, v21, v41 src0_sel:BYTE_0 src1_sel:DWORD
	s_mov_b32 s11, -1
	s_and_saveexec_b32 s25, s26
; %bb.570:                              ;   in Loop: Header=BB2_267 Depth=3
	s_xor_b32 s11, exec_lo, -1
; %bb.571:                              ;   in Loop: Header=BB2_267 Depth=3
	s_or_b32 exec_lo, exec_lo, s25
	s_and_b32 s11, s11, exec_lo
	s_or_saveexec_b32 s24, s24
	v_mov_b32_e32 v73, 0x7f800001
	s_xor_b32 exec_lo, exec_lo, s24
	s_cbranch_execz .LBB2_445
.LBB2_572:                              ;   in Loop: Header=BB2_267 Depth=3
	v_cmp_ne_u16_sdwa s25, v21, v55 src0_sel:BYTE_0 src1_sel:DWORD
	v_mov_b32_e32 v73, 0
	s_andn2_b32 s11, s11, exec_lo
	s_and_b32 s25, s25, exec_lo
	s_or_b32 s11, s11, s25
	s_or_b32 exec_lo, exec_lo, s24
	s_and_saveexec_b32 s24, s11
	s_cbranch_execnz .LBB2_446
	s_branch .LBB2_447
.LBB2_573:                              ;   in Loop: Header=BB2_267 Depth=3
	v_cmp_eq_u16_sdwa s26, v97, v41 src0_sel:BYTE_0 src1_sel:DWORD
	s_mov_b32 s11, -1
	s_and_saveexec_b32 s25, s26
; %bb.574:                              ;   in Loop: Header=BB2_267 Depth=3
	s_xor_b32 s11, exec_lo, -1
; %bb.575:                              ;   in Loop: Header=BB2_267 Depth=3
	s_or_b32 exec_lo, exec_lo, s25
	s_and_b32 s11, s11, exec_lo
	s_or_saveexec_b32 s24, s24
	v_mov_b32_e32 v22, 0x7f800001
	s_xor_b32 exec_lo, exec_lo, s24
	s_cbranch_execz .LBB2_449
.LBB2_576:                              ;   in Loop: Header=BB2_267 Depth=3
	v_cmp_ne_u16_sdwa s25, v97, v55 src0_sel:BYTE_0 src1_sel:DWORD
	v_mov_b32_e32 v22, 0
	s_andn2_b32 s11, s11, exec_lo
	s_and_b32 s25, s25, exec_lo
	s_or_b32 s11, s11, s25
	s_or_b32 exec_lo, exec_lo, s24
	s_and_saveexec_b32 s24, s11
	s_cbranch_execnz .LBB2_450
	s_branch .LBB2_451
.LBB2_577:                              ;   in Loop: Header=BB2_267 Depth=3
	v_cmp_eq_u16_sdwa s26, v21, v41 src0_sel:BYTE_1 src1_sel:DWORD
	s_mov_b32 s11, -1
	s_and_saveexec_b32 s25, s26
; %bb.578:                              ;   in Loop: Header=BB2_267 Depth=3
	s_xor_b32 s11, exec_lo, -1
; %bb.579:                              ;   in Loop: Header=BB2_267 Depth=3
	s_or_b32 exec_lo, exec_lo, s25
	s_and_b32 s11, s11, exec_lo
	s_or_saveexec_b32 s24, s24
	v_mov_b32_e32 v73, 0x7f800001
	s_xor_b32 exec_lo, exec_lo, s24
	s_cbranch_execz .LBB2_461
.LBB2_580:                              ;   in Loop: Header=BB2_267 Depth=3
	v_cmp_ne_u16_sdwa s25, v21, v55 src0_sel:BYTE_1 src1_sel:DWORD
	v_mov_b32_e32 v73, 0
	s_andn2_b32 s11, s11, exec_lo
	s_and_b32 s25, s25, exec_lo
	s_or_b32 s11, s11, s25
	s_or_b32 exec_lo, exec_lo, s24
	s_and_saveexec_b32 s24, s11
	s_cbranch_execnz .LBB2_462
	s_branch .LBB2_463
.LBB2_581:                              ;   in Loop: Header=BB2_267 Depth=3
	v_cmp_eq_u16_sdwa s26, v97, v41 src0_sel:BYTE_1 src1_sel:DWORD
	s_mov_b32 s11, -1
	s_and_saveexec_b32 s25, s26
; %bb.582:                              ;   in Loop: Header=BB2_267 Depth=3
	s_xor_b32 s11, exec_lo, -1
; %bb.583:                              ;   in Loop: Header=BB2_267 Depth=3
	s_or_b32 exec_lo, exec_lo, s25
	s_and_b32 s11, s11, exec_lo
	s_or_saveexec_b32 s24, s24
	v_mov_b32_e32 v74, 0x7f800001
	s_xor_b32 exec_lo, exec_lo, s24
	s_cbranch_execz .LBB2_465
.LBB2_584:                              ;   in Loop: Header=BB2_267 Depth=3
	v_cmp_ne_u16_sdwa s25, v97, v55 src0_sel:BYTE_1 src1_sel:DWORD
	v_mov_b32_e32 v74, 0
	s_andn2_b32 s11, s11, exec_lo
	s_and_b32 s25, s25, exec_lo
	s_or_b32 s11, s11, s25
	s_or_b32 exec_lo, exec_lo, s24
	s_and_saveexec_b32 s24, s11
	s_cbranch_execnz .LBB2_466
	s_branch .LBB2_467
.LBB2_585:                              ;   in Loop: Header=BB2_267 Depth=3
	s_mov_b32 s11, -1
	s_mov_b32 s25, exec_lo
	v_cmpx_eq_u16_e32 0x80, v75
; %bb.586:                              ;   in Loop: Header=BB2_267 Depth=3
	s_xor_b32 s11, exec_lo, -1
; %bb.587:                              ;   in Loop: Header=BB2_267 Depth=3
	s_or_b32 exec_lo, exec_lo, s25
	s_and_b32 s11, s11, exec_lo
                                        ; implicit-def: $vgpr75
	s_or_saveexec_b32 s24, s24
	v_mov_b32_e32 v74, 0x7f800001
	s_xor_b32 exec_lo, exec_lo, s24
	s_cbranch_execz .LBB2_477
.LBB2_588:                              ;   in Loop: Header=BB2_267 Depth=3
	v_cmp_ne_u16_e32 vcc_lo, 0, v75
	v_mov_b32_e32 v74, 0
	s_andn2_b32 s11, s11, exec_lo
	s_and_b32 s25, vcc_lo, exec_lo
	s_or_b32 s11, s11, s25
	s_or_b32 exec_lo, exec_lo, s24
	s_and_saveexec_b32 s24, s11
	s_cbranch_execnz .LBB2_478
	s_branch .LBB2_479
.LBB2_589:                              ;   in Loop: Header=BB2_267 Depth=3
	v_cmp_eq_u16_sdwa s26, v20, v41 src0_sel:BYTE_0 src1_sel:DWORD
	s_mov_b32 s11, -1
	s_and_saveexec_b32 s25, s26
; %bb.590:                              ;   in Loop: Header=BB2_267 Depth=3
	s_xor_b32 s11, exec_lo, -1
; %bb.591:                              ;   in Loop: Header=BB2_267 Depth=3
	s_or_b32 exec_lo, exec_lo, s25
	s_and_b32 s11, s11, exec_lo
	s_or_saveexec_b32 s24, s24
	v_mov_b32_e32 v75, 0x7f800001
	s_xor_b32 exec_lo, exec_lo, s24
	s_cbranch_execz .LBB2_481
.LBB2_592:                              ;   in Loop: Header=BB2_267 Depth=3
	v_cmp_ne_u16_sdwa s25, v20, v55 src0_sel:BYTE_0 src1_sel:DWORD
	v_mov_b32_e32 v75, 0
	s_andn2_b32 s11, s11, exec_lo
	s_and_b32 s25, s25, exec_lo
	s_or_b32 s11, s11, s25
	s_or_b32 exec_lo, exec_lo, s24
	v_lshl_or_b32 v54, v20, 16, v97
	s_and_saveexec_b32 s24, s11
	s_cbranch_execnz .LBB2_482
	s_branch .LBB2_483
.LBB2_593:                              ;   in Loop: Header=BB2_267 Depth=3
	v_cmp_eq_u16_sdwa s26, v21, v41 src0_sel:BYTE_3 src1_sel:DWORD
	s_mov_b32 s11, -1
	s_and_saveexec_b32 s25, s26
; %bb.594:                              ;   in Loop: Header=BB2_267 Depth=3
	s_xor_b32 s11, exec_lo, -1
; %bb.595:                              ;   in Loop: Header=BB2_267 Depth=3
	s_or_b32 exec_lo, exec_lo, s25
	s_and_b32 s11, s11, exec_lo
	s_or_saveexec_b32 s24, s24
	v_mov_b32_e32 v97, 0x7f800001
	s_xor_b32 exec_lo, exec_lo, s24
	s_cbranch_execz .LBB2_493
.LBB2_596:                              ;   in Loop: Header=BB2_267 Depth=3
	v_cmp_ne_u16_sdwa s25, v21, v55 src0_sel:BYTE_3 src1_sel:DWORD
	v_mov_b32_e32 v97, 0
	s_andn2_b32 s11, s11, exec_lo
	s_and_b32 s25, s25, exec_lo
	s_or_b32 s11, s11, s25
	s_or_b32 exec_lo, exec_lo, s24
	s_and_saveexec_b32 s24, s11
	s_cbranch_execnz .LBB2_494
	s_branch .LBB2_495
.LBB2_597:                              ;   in Loop: Header=BB2_267 Depth=3
	v_cmp_eq_u16_sdwa s26, v54, v41 src0_sel:BYTE_3 src1_sel:DWORD
	s_mov_b32 s11, -1
	s_and_saveexec_b32 s25, s26
; %bb.598:                              ;   in Loop: Header=BB2_267 Depth=3
	s_xor_b32 s11, exec_lo, -1
; %bb.599:                              ;   in Loop: Header=BB2_267 Depth=3
	s_or_b32 exec_lo, exec_lo, s25
	s_and_b32 s11, s11, exec_lo
	s_or_saveexec_b32 s24, s24
	v_mov_b32_e32 v21, 0x7f800001
	s_xor_b32 exec_lo, exec_lo, s24
	s_cbranch_execz .LBB2_497
.LBB2_600:                              ;   in Loop: Header=BB2_267 Depth=3
	v_cmp_ne_u16_sdwa s25, v54, v55 src0_sel:BYTE_3 src1_sel:DWORD
	v_mov_b32_e32 v21, 0
	s_andn2_b32 s11, s11, exec_lo
	s_and_b32 s25, s25, exec_lo
	s_or_b32 s11, s11, s25
	s_or_b32 exec_lo, exec_lo, s24
	s_and_saveexec_b32 s24, s11
	s_cbranch_execnz .LBB2_498
	s_branch .LBB2_499
.LBB2_601:                              ;   in Loop: Header=BB2_221 Depth=2
	s_or_b32 exec_lo, exec_lo, s23
	s_or_b32 exec_lo, exec_lo, s12
	s_and_saveexec_b32 s11, s7
	s_cbranch_execz .LBB2_258
.LBB2_602:                              ;   in Loop: Header=BB2_221 Depth=2
	s_and_saveexec_b32 s12, s19
	s_xor_b32 s12, exec_lo, s12
	s_cbranch_execz .LBB2_617
; %bb.603:                              ;   in Loop: Header=BB2_221 Depth=2
	s_and_saveexec_b32 s23, s8
	s_cbranch_execz .LBB2_616
; %bb.604:                              ;   in Loop: Header=BB2_221 Depth=2
	s_mov_b32 s25, exec_lo
	s_mov_b32 s24, exec_lo
	v_mbcnt_lo_u32_b32 v17, s25, 0
	s_waitcnt vmcnt(0) lgkmcnt(0)
	s_waitcnt_vscnt null, 0x0
	buffer_gl1_inv
	buffer_gl0_inv
	v_cmpx_eq_u32_e32 0, v17
	s_cbranch_execz .LBB2_606
; %bb.605:                              ;   in Loop: Header=BB2_221 Depth=2
	s_bcnt1_i32_b32 s25, s25
	v_mov_b32_e32 v54, s25
	ds_add_u64 v0, v[54:55]
	s_trap 2
.LBB2_606:                              ;   in Loop: Header=BB2_221 Depth=2
	s_or_b32 exec_lo, exec_lo, s24
	s_trap 2
	ds_read_b64 v[19:20], v0
	s_waitcnt lgkmcnt(0)
	buffer_gl0_inv
	v_add_co_u32 v2, vcc_lo, v2, v102
	v_add_co_ci_u32_e64 v3, null, 0, v3, vcc_lo
	s_mov_b32 s24, exec_lo
	v_cmpx_lt_u64_e64 v[19:20], v[2:3]
	s_cbranch_execz .LBB2_615
; %bb.607:                              ;   in Loop: Header=BB2_221 Depth=2
	s_mov_b32 s25, 0
	s_mov_b32 s28, 0
                                        ; implicit-def: $sgpr26
                                        ; implicit-def: $sgpr27
	s_inst_prefetch 0x1
	s_branch .LBB2_609
	.p2align	6
.LBB2_608:                              ;   in Loop: Header=BB2_609 Depth=3
	s_or_b32 exec_lo, exec_lo, s40
	s_and_b32 s29, exec_lo, s41
	s_or_b32 s25, s29, s25
	s_andn2_b32 s26, s26, exec_lo
	s_and_b32 s29, s27, exec_lo
	s_or_b32 s26, s26, s29
	s_andn2_b32 exec_lo, exec_lo, s25
	s_cbranch_execz .LBB2_613
.LBB2_609:                              ;   Parent Loop BB2_44 Depth=1
                                        ;     Parent Loop BB2_221 Depth=2
                                        ; =>    This Inner Loop Header: Depth=3
	s_add_i32 s28, s28, 1
	s_cmpk_lg_i32 s28, 0x2710
	s_cselect_b32 s29, -1, 0
	s_and_b32 vcc_lo, exec_lo, s29
	s_cbranch_vccz .LBB2_611
; %bb.610:                              ;   in Loop: Header=BB2_609 Depth=3
	s_mov_b32 s41, -1
	s_or_b32 s27, s27, exec_lo
	s_and_saveexec_b32 s40, s29
	s_cbranch_execz .LBB2_608
	s_branch .LBB2_612
	.p2align	6
.LBB2_611:                              ;   in Loop: Header=BB2_609 Depth=3
	s_trap 2
	ds_read_b64 v[19:20], v0
	s_andn2_b32 s29, s29, exec_lo
	s_mov_b32 s28, 0
	s_waitcnt lgkmcnt(0)
	flat_load_dword v17, v[19:20] glc dlc
	s_waitcnt vmcnt(0) lgkmcnt(0)
	buffer_gl1_inv
	buffer_gl0_inv
	v_cmp_eq_u32_e32 vcc_lo, 0, v17
	s_and_b32 s40, vcc_lo, exec_lo
	s_or_b32 s29, s29, s40
	s_mov_b32 s41, -1
	s_or_b32 s27, s27, exec_lo
	s_and_saveexec_b32 s40, s29
	s_cbranch_execz .LBB2_608
.LBB2_612:                              ;   in Loop: Header=BB2_609 Depth=3
	s_sleep 1
	s_trap 2
	ds_read_b64 v[19:20], v0
	s_waitcnt lgkmcnt(0)
	buffer_gl0_inv
	s_andn2_b32 s27, s27, exec_lo
	v_cmp_ge_u64_e32 vcc_lo, v[19:20], v[2:3]
	s_orn2_b32 s41, vcc_lo, exec_lo
	s_branch .LBB2_608
.LBB2_613:                              ;   in Loop: Header=BB2_221 Depth=2
	s_inst_prefetch 0x2
	s_or_b32 exec_lo, exec_lo, s25
	s_and_saveexec_b32 s25, s26
	s_xor_b32 s25, exec_lo, s25
	s_cbranch_execz .LBB2_615
; %bb.614:                              ;   in Loop: Header=BB2_221 Depth=2
	ds_write_b32 v0, v119
	s_trap 2
.LBB2_615:                              ;   in Loop: Header=BB2_221 Depth=2
	s_or_b32 exec_lo, exec_lo, s24
	;;#ASMSTART
	s_wakeup
	;;#ASMEND
.LBB2_616:                              ;   in Loop: Header=BB2_221 Depth=2
	s_or_b32 exec_lo, exec_lo, s23
.LBB2_617:                              ;   in Loop: Header=BB2_221 Depth=2
	s_andn2_saveexec_b32 s12, s12
	s_cbranch_execz .LBB2_619
; %bb.618:                              ;   in Loop: Header=BB2_221 Depth=2
	s_waitcnt vmcnt(0) lgkmcnt(0)
	s_waitcnt_vscnt null, 0x0
	buffer_gl1_inv
	buffer_gl0_inv
	s_barrier
.LBB2_619:                              ;   in Loop: Header=BB2_221 Depth=2
	s_or_b32 exec_lo, exec_lo, s12
	s_or_b32 exec_lo, exec_lo, s11
	s_and_saveexec_b32 s11, s9
	s_cbranch_execnz .LBB2_259
	s_branch .LBB2_260
.LBB2_620:                              ;   in Loop: Header=BB2_44 Depth=1
	v_mov_b32_e32 v21, v70
	v_mov_b32_e32 v22, v71
	s_and_saveexec_b32 s11, s10
	s_cbranch_execnz .LBB2_623
; %bb.621:                              ;   in Loop: Header=BB2_44 Depth=1
	s_or_b32 exec_lo, exec_lo, s11
	s_and_saveexec_b32 s10, s7
	s_cbranch_execnz .LBB2_980
.LBB2_622:                              ;   in Loop: Header=BB2_44 Depth=1
	s_or_b32 exec_lo, exec_lo, s10
	s_and_saveexec_b32 s10, s9
	s_cbranch_execz .LBB2_43
	s_branch .LBB2_998
.LBB2_623:                              ;   in Loop: Header=BB2_44 Depth=1
	flat_load_dword v54, v[23:24]
	v_and_b32_e32 v17, 7, v34
	s_waitcnt vmcnt(1) lgkmcnt(1)
	v_add_co_u32 v19, vcc_lo, v11, v56
	v_add_co_ci_u32_e64 v20, null, v12, v57, vcc_lo
	v_mul_lo_u32 v17, v17, s18
	v_add_nc_u32_e32 v83, 1, v34
	s_mov_b32 s12, 0
	v_ashrrev_i32_e32 v18, 31, v17
	v_lshlrev_b64 v[17:18], 4, v[17:18]
	s_waitcnt vmcnt(0) lgkmcnt(0)
	v_ashrrev_i32_e32 v70, 31, v54
	v_mul_lo_u32 v80, v100, v54
	v_mad_u64_u32 v[19:20], null, v99, v54, v[19:20]
	v_mul_lo_u32 v54, v99, v70
	v_add_co_u32 v70, vcc_lo, v114, v56
	v_add_co_ci_u32_e64 v71, null, v115, v57, vcc_lo
	v_add_co_u32 v84, vcc_lo, v32, v17
	v_add_co_ci_u32_e64 v85, null, v33, v18, vcc_lo
	v_add3_u32 v20, v80, v20, v54
	v_add_co_u32 v86, vcc_lo, v19, v101
	v_mov_b32_e32 v80, v4
	v_add_co_ci_u32_e64 v87, null, 0, v20, vcc_lo
	s_branch .LBB2_625
.LBB2_624:                              ;   in Loop: Header=BB2_625 Depth=2
	v_sub_nc_u32_e32 v46, v46, v103
	v_add_co_u32 v86, vcc_lo, v86, v103
	v_add_co_ci_u32_e64 v87, null, 0, v87, vcc_lo
	v_cmp_gt_i32_e32 vcc_lo, 1, v46
	v_add_co_u32 v70, s10, v70, v103
	v_add_co_ci_u32_e64 v71, null, 0, v71, s10
	v_add_nc_u32_e32 v80, v80, v1
	s_or_b32 s12, vcc_lo, s12
	s_andn2_b32 exec_lo, exec_lo, s12
	s_cbranch_execz .LBB2_979
.LBB2_625:                              ;   Parent Loop BB2_44 Depth=1
                                        ; =>  This Loop Header: Depth=2
                                        ;       Child Loop BB2_633 Depth 3
	v_and_b32_e32 v17, -4, v86
	v_mov_b32_e32 v18, v87
	v_min_u32_e32 v19, 8, v46
	v_and_b32_e32 v20, 3, v86
	v_mov_b32_e32 v97, 0
	v_mov_b32_e32 v56, 0
	global_load_dword v96, v[17:18], off slc
	s_mov_b32 s10, exec_lo
	v_add_nc_u32_e32 v54, v20, v19
	v_cmpx_lt_u32_e32 4, v54
	s_cbranch_execz .LBB2_627
; %bb.626:                              ;   in Loop: Header=BB2_625 Depth=2
	global_load_dword v56, v[17:18], off offset:4 slc
.LBB2_627:                              ;   in Loop: Header=BB2_625 Depth=2
	s_or_b32 exec_lo, exec_lo, s10
	s_mov_b32 s10, exec_lo
	v_cmpx_lt_u64_e32 8, v[54:55]
	s_cbranch_execz .LBB2_629
; %bb.628:                              ;   in Loop: Header=BB2_625 Depth=2
	global_load_dword v97, v[17:18], off offset:8 slc
.LBB2_629:                              ;   in Loop: Header=BB2_625 Depth=2
	s_or_b32 exec_lo, exec_lo, s10
	v_mov_b32_e32 v81, v55
	v_lshlrev_b64 v[17:18], 4, v[80:81]
	v_add_co_u32 v81, vcc_lo, v84, v17
	v_add_co_ci_u32_e64 v82, null, v85, v18, vcc_lo
	v_cmp_eq_u32_e32 vcc_lo, 0, v45
	v_mov_b32_e32 v45, 1
	global_load_dwordx4 v[17:20], v[81:82], off slc
	s_and_saveexec_b32 s22, vcc_lo
	s_cbranch_execz .LBB2_641
; %bb.630:                              ;   in Loop: Header=BB2_625 Depth=2
	s_waitcnt vmcnt(0)
	v_cmp_ne_u32_e32 vcc_lo, v83, v18
	v_cmp_ne_u32_e64 s10, v83, v20
	v_mov_b32_e32 v45, 0
	s_or_b32 s10, vcc_lo, s10
	s_and_saveexec_b32 s23, s10
	s_cbranch_execz .LBB2_640
; %bb.631:                              ;   in Loop: Header=BB2_625 Depth=2
	s_mov_b32 s27, 1
	s_mov_b32 s25, 0
                                        ; implicit-def: $sgpr24
                                        ; implicit-def: $sgpr26
	s_inst_prefetch 0x1
	s_branch .LBB2_633
	.p2align	6
.LBB2_632:                              ;   in Loop: Header=BB2_633 Depth=3
	s_or_b32 exec_lo, exec_lo, s29
	s_and_b32 s10, exec_lo, s10
	s_or_b32 s25, s10, s25
	s_andn2_b32 s10, s24, exec_lo
	s_and_b32 s24, s26, exec_lo
	s_or_b32 s24, s10, s24
	s_andn2_b32 exec_lo, exec_lo, s25
	s_cbranch_execz .LBB2_637
.LBB2_633:                              ;   Parent Loop BB2_44 Depth=1
                                        ;     Parent Loop BB2_625 Depth=2
                                        ; =>    This Inner Loop Header: Depth=3
	global_load_dwordx4 v[17:20], v[81:82], off slc
	s_add_i32 s27, s27, 1
	s_mov_b32 s10, -1
	s_cmpk_lg_i32 s27, 0x2710
	s_mov_b32 s28, -1
                                        ; implicit-def: $vgpr54
	s_cbranch_scc0 .LBB2_635
; %bb.634:                              ;   in Loop: Header=BB2_633 Depth=3
	s_or_b32 s26, s26, exec_lo
	s_and_saveexec_b32 s29, s28
	s_cbranch_execz .LBB2_632
	s_branch .LBB2_636
	.p2align	6
.LBB2_635:                              ;   in Loop: Header=BB2_633 Depth=3
	s_trap 2
	ds_read_b64 v[57:58], v0
	s_mov_b32 s27, 0
	s_waitcnt vmcnt(0) lgkmcnt(0)
	s_waitcnt_vscnt null, 0x0
	flat_load_dword v54, v[57:58] glc dlc
	s_waitcnt vmcnt(0) lgkmcnt(0)
	buffer_gl1_inv
	buffer_gl0_inv
	v_cmp_eq_u32_e32 vcc_lo, 0, v54
	s_orn2_b32 s28, vcc_lo, exec_lo
	s_or_b32 s26, s26, exec_lo
	s_and_saveexec_b32 s29, s28
	s_cbranch_execz .LBB2_632
.LBB2_636:                              ;   in Loop: Header=BB2_633 Depth=3
	s_waitcnt vmcnt(0)
	v_cmp_eq_u32_e32 vcc_lo, v83, v18
	v_cmp_eq_u32_e64 s10, v83, v20
	s_andn2_b32 s26, s26, exec_lo
	s_and_b32 s10, vcc_lo, s10
	s_orn2_b32 s10, s10, exec_lo
	s_branch .LBB2_632
.LBB2_637:                              ;   in Loop: Header=BB2_625 Depth=2
	s_inst_prefetch 0x2
	s_or_b32 exec_lo, exec_lo, s25
	v_mov_b32_e32 v45, 0
	s_and_saveexec_b32 s10, s24
	s_xor_b32 s10, exec_lo, s10
	s_cbranch_execz .LBB2_639
; %bb.638:                              ;   in Loop: Header=BB2_625 Depth=2
	v_mov_b32_e32 v45, 1
	s_waitcnt vmcnt(0)
	s_waitcnt_vscnt null, 0x0
	ds_write_b32 v0, v54
	s_trap 2
.LBB2_639:                              ;   in Loop: Header=BB2_625 Depth=2
	s_or_b32 exec_lo, exec_lo, s10
.LBB2_640:                              ;   in Loop: Header=BB2_625 Depth=2
	s_or_b32 exec_lo, exec_lo, s23
.LBB2_641:                              ;   in Loop: Header=BB2_625 Depth=2
	s_or_b32 exec_lo, exec_lo, s22
	s_waitcnt vmcnt(0)
	v_lshlrev_b32_e32 v18, 3, v86
	s_mov_b32 s10, 0
	v_alignbit_b32 v54, v56, v96, v18
	v_cmp_gt_i16_sdwa s22, v54, v40 src0_sel:BYTE_0 src1_sel:DWORD
	s_and_saveexec_b32 s23, s22
	s_xor_b32 s22, exec_lo, s23
	s_cbranch_execnz .LBB2_883
; %bb.642:                              ;   in Loop: Header=BB2_625 Depth=2
	s_or_saveexec_b32 s22, s22
	v_mov_b32_e32 v20, 0x7f800001
	s_xor_b32 exec_lo, exec_lo, s22
	s_cbranch_execnz .LBB2_886
.LBB2_643:                              ;   in Loop: Header=BB2_625 Depth=2
	s_or_b32 exec_lo, exec_lo, s22
	s_and_saveexec_b32 s22, s10
	s_cbranch_execz .LBB2_645
.LBB2_644:                              ;   in Loop: Header=BB2_625 Depth=2
	v_and_b32_e32 v20, 7, v54
	v_bfe_u32 v96, v54, 3, 4
	v_lshlrev_b32_e32 v47, 24, v54
	v_ffbh_u32_e32 v81, v20
	v_cmp_eq_u32_e32 vcc_lo, 0, v96
	v_min_u32_e32 v81, 32, v81
	v_subrev_nc_u32_e32 v82, 28, v81
	v_sub_nc_u32_e32 v81, 29, v81
	v_lshlrev_b32_e32 v82, v82, v54
	v_cndmask_b32_e32 v81, v96, v81, vcc_lo
	v_and_b32_e32 v82, 7, v82
	v_lshl_add_u32 v81, v81, 23, 0x3b800000
	v_cndmask_b32_e32 v20, v20, v82, vcc_lo
	v_and_b32_e32 v82, 0x80000000, v47
	v_lshlrev_b32_e32 v20, 20, v20
	v_or3_b32 v20, v82, v81, v20
.LBB2_645:                              ;   in Loop: Header=BB2_625 Depth=2
	s_or_b32 exec_lo, exec_lo, s22
	v_mul_f32_e32 v81, v0, v20
	v_and_b32_e32 v20, 0x7f800000, v81
	v_cmp_ne_u32_e32 vcc_lo, 0x7f800000, v20
	v_mov_b32_e32 v20, 0x80
	s_and_saveexec_b32 s22, vcc_lo
	s_cbranch_execz .LBB2_653
; %bb.646:                              ;   in Loop: Header=BB2_625 Depth=2
	v_mov_b32_e32 v20, 0
	s_mov_b32 s23, exec_lo
	v_cmpx_ne_u32_e32 0, v81
	s_cbranch_execz .LBB2_652
; %bb.647:                              ;   in Loop: Header=BB2_625 Depth=2
	v_bfe_u32 v20, v81, 23, 8
	v_and_b32_e32 v82, 0x7fffff, v81
	v_sub_nc_u32_e32 v96, 0x78, v20
	v_cmp_gt_u32_e32 vcc_lo, 0x79, v20
	v_or_b32_e32 v47, 0x800000, v82
	v_cndmask_b32_e32 v96, 0, v96, vcc_lo
	v_cmp_eq_u32_e32 vcc_lo, 0, v20
	v_add_nc_u32_e32 v20, 0xffffff89, v20
	v_cndmask_b32_e64 v96, v96, 0x77, vcc_lo
	v_cndmask_b32_e32 v82, v47, v82, vcc_lo
	v_cndmask_b32_e64 v20, v20, 0xffffff8a, vcc_lo
	v_lshl_add_u32 v47, 0x100000, v96, -1
	v_lshrrev_b32_e32 v57, v96, v82
	v_lshlrev_b32_e64 v59, v96, 0x80000
	v_add_nc_u32_e32 v96, v96, v20
	v_and_b32_e32 v82, v47, v82
	v_bfe_u32 v58, v57, 20, 1
	v_cmp_eq_u32_e64 s10, v82, v59
	v_add_nc_u32_e32 v47, -1, v58
	v_cndmask_b32_e64 v82, 0, v47, s10
	v_lshrrev_b32_e32 v47, 23, v57
	s_mov_b32 s10, exec_lo
	v_add_nc_u32_e32 v82, v82, v57
	v_xor_b32_e32 v47, 1, v47
	v_and_b32_e32 v20, 0xfffff, v82
	v_add_nc_u32_e32 v82, v20, v57
                                        ; implicit-def: $vgpr20
	v_cmpx_ne_u32_e64 v96, v47
	s_xor_b32 s10, exec_lo, s10
; %bb.648:                              ;   in Loop: Header=BB2_625 Depth=2
	v_cmp_lt_u32_e32 vcc_lo, 0xffffff, v82
	v_sub_nc_u32_e32 v20, v96, v47
	v_cndmask_b32_e64 v96, 0, 1, vcc_lo
	v_add_co_ci_u32_e64 v20, null, 0, v20, vcc_lo
	v_lshrrev_b32_e32 v82, v96, v82
; %bb.649:                              ;   in Loop: Header=BB2_625 Depth=2
	s_andn2_saveexec_b32 s10, s10
; %bb.650:                              ;   in Loop: Header=BB2_625 Depth=2
	v_bfe_u32 v20, v82, 23, 1
; %bb.651:                              ;   in Loop: Header=BB2_625 Depth=2
	s_or_b32 exec_lo, exec_lo, s10
	v_lshrrev_b32_e32 v82, 20, v82
	v_min_i32_e32 v96, 15, v20
	v_cmp_gt_i32_e32 vcc_lo, 16, v20
	v_and_b32_sdwa v81, v81, v41 dst_sel:DWORD dst_unused:UNUSED_PAD src0_sel:BYTE_3 src1_sel:DWORD
	v_lshlrev_b32_e32 v96, 3, v96
	v_cndmask_b32_e32 v82, 7, v82, vcc_lo
	v_and_b32_e32 v96, 0xf8, v96
	v_and_b32_e32 v47, 7, v82
	v_or_b32_e32 v20, v20, v82
	v_or3_b32 v81, v96, v81, v47
	v_cmp_ne_u32_e32 vcc_lo, 0, v20
	v_cndmask_b32_e32 v20, 0, v81, vcc_lo
.LBB2_652:                              ;   in Loop: Header=BB2_625 Depth=2
	s_or_b32 exec_lo, exec_lo, s23
.LBB2_653:                              ;   in Loop: Header=BB2_625 Depth=2
	s_or_b32 exec_lo, exec_lo, s22
	v_cmp_gt_i16_sdwa s22, v54, v40 src0_sel:BYTE_1 src1_sel:DWORD
	s_mov_b32 s10, 0
	s_and_saveexec_b32 s23, s22
	s_xor_b32 s22, exec_lo, s23
	s_cbranch_execnz .LBB2_887
; %bb.654:                              ;   in Loop: Header=BB2_625 Depth=2
	s_or_saveexec_b32 s22, s22
	v_mov_b32_e32 v81, 0x7f800001
	s_xor_b32 exec_lo, exec_lo, s22
	s_cbranch_execnz .LBB2_890
.LBB2_655:                              ;   in Loop: Header=BB2_625 Depth=2
	s_or_b32 exec_lo, exec_lo, s22
	s_and_saveexec_b32 s22, s10
	s_cbranch_execz .LBB2_657
.LBB2_656:                              ;   in Loop: Header=BB2_625 Depth=2
	v_and_b32_sdwa v81, v42, v54 dst_sel:DWORD dst_unused:UNUSED_PAD src0_sel:DWORD src1_sel:BYTE_1
	v_and_b32_e32 v82, 7, v81
	v_bfe_u32 v57, v81, 3, 4
	v_ffbh_u32_e32 v96, v82
	v_cmp_eq_u32_e32 vcc_lo, 0, v57
	v_min_u32_e32 v96, 32, v96
	v_subrev_nc_u32_e32 v47, 28, v96
	v_sub_nc_u32_e32 v96, 29, v96
	v_lshlrev_b32_e32 v81, v47, v81
	v_lshlrev_b32_sdwa v47, v43, v54 dst_sel:DWORD dst_unused:UNUSED_PAD src0_sel:DWORD src1_sel:BYTE_1
	v_cndmask_b32_e32 v96, v57, v96, vcc_lo
	v_and_b32_e32 v81, 7, v81
	v_lshl_add_u32 v96, v96, 23, 0x3b800000
	v_cndmask_b32_e32 v81, v82, v81, vcc_lo
	v_and_b32_e32 v82, 0x80000000, v47
	v_lshlrev_b32_e32 v81, 20, v81
	v_or3_b32 v81, v82, v96, v81
.LBB2_657:                              ;   in Loop: Header=BB2_625 Depth=2
	s_or_b32 exec_lo, exec_lo, s22
	v_mul_f32_e32 v81, v0, v81
	v_and_b32_e32 v82, 0x7f800000, v81
	v_cmp_ne_u32_e32 vcc_lo, 0x7f800000, v82
	v_mov_b32_e32 v82, 0x8000
	s_and_saveexec_b32 s22, vcc_lo
	s_cbranch_execz .LBB2_665
; %bb.658:                              ;   in Loop: Header=BB2_625 Depth=2
	v_mov_b32_e32 v82, 0
	s_mov_b32 s23, exec_lo
	v_cmpx_ne_u32_e32 0, v81
	s_cbranch_execz .LBB2_664
; %bb.659:                              ;   in Loop: Header=BB2_625 Depth=2
	v_bfe_u32 v82, v81, 23, 8
	v_and_b32_e32 v96, 0x7fffff, v81
	v_sub_nc_u32_e32 v47, 0x78, v82
	v_cmp_gt_u32_e32 vcc_lo, 0x79, v82
	v_or_b32_e32 v57, 0x800000, v96
	v_cndmask_b32_e32 v47, 0, v47, vcc_lo
	v_cmp_eq_u32_e32 vcc_lo, 0, v82
	v_add_nc_u32_e32 v82, 0xffffff89, v82
	v_cndmask_b32_e64 v47, v47, 0x77, vcc_lo
	v_cndmask_b32_e32 v96, v57, v96, vcc_lo
	v_cndmask_b32_e64 v82, v82, 0xffffff8a, vcc_lo
	v_lshl_add_u32 v57, 0x100000, v47, -1
	v_lshrrev_b32_e32 v58, v47, v96
	v_lshlrev_b32_e64 v60, v47, 0x80000
	v_add_nc_u32_e32 v47, v47, v82
	v_and_b32_e32 v96, v57, v96
	v_bfe_u32 v59, v58, 20, 1
	v_cmp_eq_u32_e64 s10, v96, v60
	v_add_nc_u32_e32 v57, -1, v59
	v_cndmask_b32_e64 v96, 0, v57, s10
	v_lshrrev_b32_e32 v57, 23, v58
	s_mov_b32 s10, exec_lo
	v_add_nc_u32_e32 v96, v96, v58
	v_xor_b32_e32 v57, 1, v57
	v_and_b32_e32 v82, 0xfffff, v96
	v_add_nc_u32_e32 v96, v82, v58
                                        ; implicit-def: $vgpr82
	v_cmpx_ne_u32_e64 v47, v57
	s_xor_b32 s10, exec_lo, s10
; %bb.660:                              ;   in Loop: Header=BB2_625 Depth=2
	v_cmp_lt_u32_e32 vcc_lo, 0xffffff, v96
	v_sub_nc_u32_e32 v82, v47, v57
	v_cndmask_b32_e64 v47, 0, 1, vcc_lo
	v_add_co_ci_u32_e64 v82, null, 0, v82, vcc_lo
	v_lshrrev_b32_e32 v96, v47, v96
; %bb.661:                              ;   in Loop: Header=BB2_625 Depth=2
	s_andn2_saveexec_b32 s10, s10
; %bb.662:                              ;   in Loop: Header=BB2_625 Depth=2
	v_bfe_u32 v82, v96, 23, 1
; %bb.663:                              ;   in Loop: Header=BB2_625 Depth=2
	s_or_b32 exec_lo, exec_lo, s10
	v_lshrrev_b32_e32 v96, 20, v96
	v_min_i32_e32 v47, 15, v82
	v_cmp_gt_i32_e32 vcc_lo, 16, v82
	v_and_b32_sdwa v81, v81, v41 dst_sel:DWORD dst_unused:UNUSED_PAD src0_sel:BYTE_3 src1_sel:DWORD
	v_lshlrev_b32_e32 v47, 3, v47
	v_cndmask_b32_e32 v96, 7, v96, vcc_lo
	v_and_b32_e32 v47, 0xf8, v47
	v_and_b32_e32 v57, 7, v96
	v_or_b32_e32 v82, v82, v96
	v_or3_b32 v81, v81, v47, v57
	v_cmp_ne_u32_e32 vcc_lo, 0, v82
	v_lshlrev_b32_e32 v81, 8, v81
	v_cndmask_b32_e32 v82, 0, v81, vcc_lo
.LBB2_664:                              ;   in Loop: Header=BB2_625 Depth=2
	s_or_b32 exec_lo, exec_lo, s23
.LBB2_665:                              ;   in Loop: Header=BB2_625 Depth=2
	s_or_b32 exec_lo, exec_lo, s22
	v_and_b32_sdwa v96, v54, v44 dst_sel:DWORD dst_unused:UNUSED_PAD src0_sel:WORD_1 src1_sel:DWORD
	s_mov_b32 s10, 0
	s_mov_b32 s22, exec_lo
	v_cmpx_lt_i16_e32 0x7f, v96
	s_xor_b32 s22, exec_lo, s22
	s_cbranch_execnz .LBB2_891
; %bb.666:                              ;   in Loop: Header=BB2_625 Depth=2
	s_or_saveexec_b32 s22, s22
	v_mov_b32_e32 v81, 0x7f800001
	s_xor_b32 exec_lo, exec_lo, s22
	s_cbranch_execnz .LBB2_894
.LBB2_667:                              ;   in Loop: Header=BB2_625 Depth=2
	s_or_b32 exec_lo, exec_lo, s22
	s_and_saveexec_b32 s22, s10
	s_cbranch_execz .LBB2_669
.LBB2_668:                              ;   in Loop: Header=BB2_625 Depth=2
	v_bfe_u32 v81, v54, 16, 3
	v_bfe_u32 v57, v54, 19, 4
	v_lshlrev_b32_e32 v58, 8, v54
	v_ffbh_u32_e32 v96, v81
	v_cmp_eq_u32_e32 vcc_lo, 0, v57
	v_min_u32_e32 v96, 32, v96
	v_subrev_nc_u32_e32 v47, 28, v96
	v_sub_nc_u32_e32 v96, 29, v96
	v_lshlrev_b32_sdwa v47, v47, v54 dst_sel:DWORD dst_unused:UNUSED_PAD src0_sel:DWORD src1_sel:WORD_1
	v_cndmask_b32_e32 v96, v57, v96, vcc_lo
	v_and_b32_e32 v47, 7, v47
	v_lshl_add_u32 v96, v96, 23, 0x3b800000
	v_cndmask_b32_e32 v81, v81, v47, vcc_lo
	v_and_b32_e32 v47, 0x80000000, v58
	v_lshlrev_b32_e32 v81, 20, v81
	v_or3_b32 v81, v47, v96, v81
.LBB2_669:                              ;   in Loop: Header=BB2_625 Depth=2
	s_or_b32 exec_lo, exec_lo, s22
	v_mul_f32_e32 v81, v0, v81
	v_and_b32_e32 v96, 0x7f800000, v81
	v_cmp_ne_u32_e32 vcc_lo, 0x7f800000, v96
	v_mov_b32_e32 v96, 0x80
	s_and_saveexec_b32 s22, vcc_lo
	s_cbranch_execz .LBB2_677
; %bb.670:                              ;   in Loop: Header=BB2_625 Depth=2
	v_mov_b32_e32 v96, 0
	s_mov_b32 s23, exec_lo
	v_cmpx_ne_u32_e32 0, v81
	s_cbranch_execz .LBB2_676
; %bb.671:                              ;   in Loop: Header=BB2_625 Depth=2
	v_bfe_u32 v96, v81, 23, 8
	v_and_b32_e32 v47, 0x7fffff, v81
	v_sub_nc_u32_e32 v57, 0x78, v96
	v_cmp_gt_u32_e32 vcc_lo, 0x79, v96
	v_or_b32_e32 v58, 0x800000, v47
	v_cndmask_b32_e32 v57, 0, v57, vcc_lo
	v_cmp_eq_u32_e32 vcc_lo, 0, v96
	v_add_nc_u32_e32 v96, 0xffffff89, v96
	v_cndmask_b32_e64 v57, v57, 0x77, vcc_lo
	v_cndmask_b32_e32 v47, v58, v47, vcc_lo
	v_cndmask_b32_e64 v96, v96, 0xffffff8a, vcc_lo
	v_lshl_add_u32 v58, 0x100000, v57, -1
	v_lshrrev_b32_e32 v59, v57, v47
	v_lshlrev_b32_e64 v61, v57, 0x80000
	v_add_nc_u32_e32 v57, v57, v96
	v_and_b32_e32 v47, v58, v47
	v_bfe_u32 v60, v59, 20, 1
	v_cmp_eq_u32_e64 s10, v47, v61
	v_add_nc_u32_e32 v58, -1, v60
	v_cndmask_b32_e64 v47, 0, v58, s10
	v_lshrrev_b32_e32 v58, 23, v59
	s_mov_b32 s10, exec_lo
	v_add_nc_u32_e32 v47, v47, v59
	v_xor_b32_e32 v58, 1, v58
	v_and_b32_e32 v96, 0xfffff, v47
	v_add_nc_u32_e32 v47, v96, v59
                                        ; implicit-def: $vgpr96
	v_cmpx_ne_u32_e64 v57, v58
	s_xor_b32 s10, exec_lo, s10
; %bb.672:                              ;   in Loop: Header=BB2_625 Depth=2
	v_cmp_lt_u32_e32 vcc_lo, 0xffffff, v47
	v_sub_nc_u32_e32 v96, v57, v58
	v_cndmask_b32_e64 v57, 0, 1, vcc_lo
	v_add_co_ci_u32_e64 v96, null, 0, v96, vcc_lo
	v_lshrrev_b32_e32 v47, v57, v47
; %bb.673:                              ;   in Loop: Header=BB2_625 Depth=2
	s_andn2_saveexec_b32 s10, s10
; %bb.674:                              ;   in Loop: Header=BB2_625 Depth=2
	v_bfe_u32 v96, v47, 23, 1
; %bb.675:                              ;   in Loop: Header=BB2_625 Depth=2
	s_or_b32 exec_lo, exec_lo, s10
	v_lshrrev_b32_e32 v47, 20, v47
	v_min_i32_e32 v57, 15, v96
	v_cmp_gt_i32_e32 vcc_lo, 16, v96
	v_and_b32_sdwa v81, v81, v41 dst_sel:DWORD dst_unused:UNUSED_PAD src0_sel:BYTE_3 src1_sel:DWORD
	v_lshlrev_b32_e32 v57, 3, v57
	v_cndmask_b32_e32 v47, 7, v47, vcc_lo
	v_and_b32_e32 v57, 0xf8, v57
	v_and_b32_e32 v58, 7, v47
	v_or_b32_e32 v96, v96, v47
	v_or3_b32 v81, v57, v81, v58
	v_cmp_ne_u32_e32 vcc_lo, 0, v96
	v_cndmask_b32_e32 v96, 0, v81, vcc_lo
.LBB2_676:                              ;   in Loop: Header=BB2_625 Depth=2
	s_or_b32 exec_lo, exec_lo, s23
.LBB2_677:                              ;   in Loop: Header=BB2_625 Depth=2
	s_or_b32 exec_lo, exec_lo, s22
	v_cmp_gt_i16_sdwa s22, v54, v40 src0_sel:BYTE_3 src1_sel:DWORD
	s_mov_b32 s10, 0
	s_and_saveexec_b32 s23, s22
	s_xor_b32 s22, exec_lo, s23
	s_cbranch_execnz .LBB2_895
; %bb.678:                              ;   in Loop: Header=BB2_625 Depth=2
	s_or_saveexec_b32 s22, s22
	v_mov_b32_e32 v81, 0x7f800001
	s_xor_b32 exec_lo, exec_lo, s22
	s_cbranch_execnz .LBB2_898
.LBB2_679:                              ;   in Loop: Header=BB2_625 Depth=2
	s_or_b32 exec_lo, exec_lo, s22
	s_and_saveexec_b32 s22, s10
	s_cbranch_execz .LBB2_681
.LBB2_680:                              ;   in Loop: Header=BB2_625 Depth=2
	v_bfe_u32 v81, v54, 24, 3
	v_bfe_u32 v58, v54, 27, 4
	v_ffbh_u32_e32 v47, v81
	v_cmp_eq_u32_e32 vcc_lo, 0, v58
	v_min_u32_e32 v47, 32, v47
	v_subrev_nc_u32_e32 v57, 28, v47
	v_sub_nc_u32_e32 v47, 29, v47
	v_lshlrev_b32_sdwa v57, v57, v54 dst_sel:DWORD dst_unused:UNUSED_PAD src0_sel:DWORD src1_sel:BYTE_3
	v_cndmask_b32_e32 v47, v58, v47, vcc_lo
	v_and_b32_e32 v54, 0x80000000, v54
	v_and_b32_e32 v57, 7, v57
	v_lshl_add_u32 v47, v47, 23, 0x3b800000
	v_cndmask_b32_e32 v81, v81, v57, vcc_lo
	v_lshlrev_b32_e32 v81, 20, v81
	v_or3_b32 v81, v54, v47, v81
.LBB2_681:                              ;   in Loop: Header=BB2_625 Depth=2
	s_or_b32 exec_lo, exec_lo, s22
	v_mul_f32_e32 v54, v0, v81
	v_mov_b32_e32 v47, 0x8000
	s_mov_b32 s22, exec_lo
	v_and_b32_e32 v81, 0x7f800000, v54
	v_cmpx_ne_u32_e32 0x7f800000, v81
	s_cbranch_execz .LBB2_689
; %bb.682:                              ;   in Loop: Header=BB2_625 Depth=2
	v_mov_b32_e32 v47, 0
	s_mov_b32 s23, exec_lo
	v_cmpx_ne_u32_e32 0, v54
	s_cbranch_execz .LBB2_688
; %bb.683:                              ;   in Loop: Header=BB2_625 Depth=2
	v_bfe_u32 v81, v54, 23, 8
	v_and_b32_e32 v47, 0x7fffff, v54
	v_sub_nc_u32_e32 v57, 0x78, v81
	v_cmp_gt_u32_e32 vcc_lo, 0x79, v81
	v_or_b32_e32 v58, 0x800000, v47
	v_cndmask_b32_e32 v57, 0, v57, vcc_lo
	v_cmp_eq_u32_e32 vcc_lo, 0, v81
	v_add_nc_u32_e32 v81, 0xffffff89, v81
	v_cndmask_b32_e64 v57, v57, 0x77, vcc_lo
	v_cndmask_b32_e32 v47, v58, v47, vcc_lo
	v_cndmask_b32_e64 v81, v81, 0xffffff8a, vcc_lo
	v_lshl_add_u32 v58, 0x100000, v57, -1
	v_lshrrev_b32_e32 v59, v57, v47
	v_lshlrev_b32_e64 v61, v57, 0x80000
	v_add_nc_u32_e32 v57, v57, v81
	v_and_b32_e32 v47, v58, v47
	v_bfe_u32 v60, v59, 20, 1
	v_cmp_eq_u32_e64 s10, v47, v61
	v_add_nc_u32_e32 v58, -1, v60
	v_cndmask_b32_e64 v47, 0, v58, s10
	v_lshrrev_b32_e32 v58, 23, v59
	s_mov_b32 s10, exec_lo
	v_add_nc_u32_e32 v47, v47, v59
	v_xor_b32_e32 v58, 1, v58
	v_and_b32_e32 v81, 0xfffff, v47
	v_add_nc_u32_e32 v47, v81, v59
                                        ; implicit-def: $vgpr81
	v_cmpx_ne_u32_e64 v57, v58
	s_xor_b32 s10, exec_lo, s10
; %bb.684:                              ;   in Loop: Header=BB2_625 Depth=2
	v_cmp_lt_u32_e32 vcc_lo, 0xffffff, v47
	v_sub_nc_u32_e32 v81, v57, v58
	v_cndmask_b32_e64 v57, 0, 1, vcc_lo
	v_add_co_ci_u32_e64 v81, null, 0, v81, vcc_lo
	v_lshrrev_b32_e32 v47, v57, v47
; %bb.685:                              ;   in Loop: Header=BB2_625 Depth=2
	s_andn2_saveexec_b32 s10, s10
; %bb.686:                              ;   in Loop: Header=BB2_625 Depth=2
	v_bfe_u32 v81, v47, 23, 1
; %bb.687:                              ;   in Loop: Header=BB2_625 Depth=2
	s_or_b32 exec_lo, exec_lo, s10
	v_lshrrev_b32_e32 v47, 20, v47
	v_min_i32_e32 v57, 15, v81
	v_cmp_gt_i32_e32 vcc_lo, 16, v81
	v_and_b32_sdwa v54, v54, v41 dst_sel:DWORD dst_unused:UNUSED_PAD src0_sel:BYTE_3 src1_sel:DWORD
	v_lshlrev_b32_e32 v57, 3, v57
	v_cndmask_b32_e32 v47, 7, v47, vcc_lo
	v_and_b32_e32 v57, 0xf8, v57
	v_and_b32_e32 v58, 7, v47
	v_or_b32_e32 v81, v81, v47
	v_or3_b32 v54, v54, v57, v58
	v_cmp_ne_u32_e32 vcc_lo, 0, v81
	v_lshlrev_b32_e32 v54, 8, v54
	v_cndmask_b32_e32 v47, 0, v54, vcc_lo
.LBB2_688:                              ;   in Loop: Header=BB2_625 Depth=2
	s_or_b32 exec_lo, exec_lo, s23
.LBB2_689:                              ;   in Loop: Header=BB2_625 Depth=2
	s_or_b32 exec_lo, exec_lo, s22
	v_alignbit_b32 v81, v97, v56, v18
	s_mov_b32 s10, 0
	v_cmp_gt_i16_sdwa s22, v81, v40 src0_sel:BYTE_0 src1_sel:DWORD
	s_and_saveexec_b32 s23, s22
	s_xor_b32 s22, exec_lo, s23
	s_cbranch_execnz .LBB2_899
; %bb.690:                              ;   in Loop: Header=BB2_625 Depth=2
	s_or_saveexec_b32 s22, s22
	v_mov_b32_e32 v18, 0x7f800001
	s_xor_b32 exec_lo, exec_lo, s22
	s_cbranch_execnz .LBB2_902
.LBB2_691:                              ;   in Loop: Header=BB2_625 Depth=2
	s_or_b32 exec_lo, exec_lo, s22
	s_and_saveexec_b32 s22, s10
	s_cbranch_execz .LBB2_693
.LBB2_692:                              ;   in Loop: Header=BB2_625 Depth=2
	v_and_b32_e32 v18, 7, v81
	v_bfe_u32 v56, v81, 3, 4
	v_lshlrev_b32_e32 v57, 24, v81
	v_ffbh_u32_e32 v54, v18
	v_cmp_eq_u32_e32 vcc_lo, 0, v56
	v_min_u32_e32 v54, 32, v54
	v_subrev_nc_u32_e32 v97, 28, v54
	v_sub_nc_u32_e32 v54, 29, v54
	v_lshlrev_b32_e32 v97, v97, v81
	v_cndmask_b32_e32 v54, v56, v54, vcc_lo
	v_and_b32_e32 v97, 7, v97
	v_lshl_add_u32 v54, v54, 23, 0x3b800000
	v_cndmask_b32_e32 v18, v18, v97, vcc_lo
	v_and_b32_e32 v97, 0x80000000, v57
	v_lshlrev_b32_e32 v18, 20, v18
	v_or3_b32 v18, v97, v54, v18
.LBB2_693:                              ;   in Loop: Header=BB2_625 Depth=2
	s_or_b32 exec_lo, exec_lo, s22
	v_mul_f32_e32 v18, v0, v18
	v_and_b32_e32 v54, 0x7f800000, v18
	v_cmp_ne_u32_e32 vcc_lo, 0x7f800000, v54
	v_mov_b32_e32 v54, 0x80
	s_and_saveexec_b32 s22, vcc_lo
	s_cbranch_execz .LBB2_701
; %bb.694:                              ;   in Loop: Header=BB2_625 Depth=2
	v_mov_b32_e32 v54, 0
	s_mov_b32 s23, exec_lo
	v_cmpx_ne_u32_e32 0, v18
	s_cbranch_execz .LBB2_700
; %bb.695:                              ;   in Loop: Header=BB2_625 Depth=2
	v_bfe_u32 v54, v18, 23, 8
	v_and_b32_e32 v97, 0x7fffff, v18
	v_sub_nc_u32_e32 v56, 0x78, v54
	v_cmp_gt_u32_e32 vcc_lo, 0x79, v54
	v_or_b32_e32 v57, 0x800000, v97
	v_cndmask_b32_e32 v56, 0, v56, vcc_lo
	v_cmp_eq_u32_e32 vcc_lo, 0, v54
	v_add_nc_u32_e32 v54, 0xffffff89, v54
	v_cndmask_b32_e64 v56, v56, 0x77, vcc_lo
	v_cndmask_b32_e32 v97, v57, v97, vcc_lo
	v_cndmask_b32_e64 v54, v54, 0xffffff8a, vcc_lo
	v_lshl_add_u32 v57, 0x100000, v56, -1
	v_lshrrev_b32_e32 v58, v56, v97
	v_lshlrev_b32_e64 v60, v56, 0x80000
	v_add_nc_u32_e32 v56, v56, v54
	v_and_b32_e32 v97, v57, v97
	v_bfe_u32 v59, v58, 20, 1
	v_cmp_eq_u32_e64 s10, v97, v60
	v_add_nc_u32_e32 v57, -1, v59
	v_cndmask_b32_e64 v97, 0, v57, s10
	v_lshrrev_b32_e32 v57, 23, v58
	s_mov_b32 s10, exec_lo
	v_add_nc_u32_e32 v97, v97, v58
	v_xor_b32_e32 v57, 1, v57
	v_and_b32_e32 v54, 0xfffff, v97
	v_add_nc_u32_e32 v97, v54, v58
                                        ; implicit-def: $vgpr54
	v_cmpx_ne_u32_e64 v56, v57
	s_xor_b32 s10, exec_lo, s10
; %bb.696:                              ;   in Loop: Header=BB2_625 Depth=2
	v_cmp_lt_u32_e32 vcc_lo, 0xffffff, v97
	v_sub_nc_u32_e32 v54, v56, v57
	v_cndmask_b32_e64 v56, 0, 1, vcc_lo
	v_add_co_ci_u32_e64 v54, null, 0, v54, vcc_lo
	v_lshrrev_b32_e32 v97, v56, v97
; %bb.697:                              ;   in Loop: Header=BB2_625 Depth=2
	s_andn2_saveexec_b32 s10, s10
; %bb.698:                              ;   in Loop: Header=BB2_625 Depth=2
	v_bfe_u32 v54, v97, 23, 1
; %bb.699:                              ;   in Loop: Header=BB2_625 Depth=2
	s_or_b32 exec_lo, exec_lo, s10
	v_lshrrev_b32_e32 v97, 20, v97
	v_min_i32_e32 v56, 15, v54
	v_cmp_gt_i32_e32 vcc_lo, 16, v54
	v_and_b32_sdwa v18, v18, v41 dst_sel:DWORD dst_unused:UNUSED_PAD src0_sel:BYTE_3 src1_sel:DWORD
	v_lshlrev_b32_e32 v56, 3, v56
	v_cndmask_b32_e32 v97, 7, v97, vcc_lo
	v_and_b32_e32 v56, 0xf8, v56
	v_and_b32_e32 v57, 7, v97
	v_or_b32_e32 v54, v54, v97
	v_or3_b32 v18, v56, v18, v57
	v_cmp_ne_u32_e32 vcc_lo, 0, v54
	v_cndmask_b32_e32 v54, 0, v18, vcc_lo
.LBB2_700:                              ;   in Loop: Header=BB2_625 Depth=2
	s_or_b32 exec_lo, exec_lo, s23
.LBB2_701:                              ;   in Loop: Header=BB2_625 Depth=2
	s_or_b32 exec_lo, exec_lo, s22
	v_cmp_gt_i16_sdwa s22, v81, v40 src0_sel:BYTE_1 src1_sel:DWORD
	s_mov_b32 s10, 0
	s_and_saveexec_b32 s23, s22
	s_xor_b32 s22, exec_lo, s23
	s_cbranch_execnz .LBB2_903
; %bb.702:                              ;   in Loop: Header=BB2_625 Depth=2
	s_or_saveexec_b32 s22, s22
	v_mov_b32_e32 v18, 0x7f800001
	s_xor_b32 exec_lo, exec_lo, s22
	s_cbranch_execnz .LBB2_906
.LBB2_703:                              ;   in Loop: Header=BB2_625 Depth=2
	s_or_b32 exec_lo, exec_lo, s22
	s_and_saveexec_b32 s22, s10
	s_cbranch_execz .LBB2_705
.LBB2_704:                              ;   in Loop: Header=BB2_625 Depth=2
	v_and_b32_sdwa v18, v42, v81 dst_sel:DWORD dst_unused:UNUSED_PAD src0_sel:DWORD src1_sel:BYTE_1
	v_and_b32_e32 v97, 7, v18
	v_bfe_u32 v58, v18, 3, 4
	v_ffbh_u32_e32 v56, v97
	v_cmp_eq_u32_e32 vcc_lo, 0, v58
	v_min_u32_e32 v56, 32, v56
	v_subrev_nc_u32_e32 v57, 28, v56
	v_sub_nc_u32_e32 v56, 29, v56
	v_lshlrev_b32_e32 v18, v57, v18
	v_lshlrev_b32_sdwa v57, v43, v81 dst_sel:DWORD dst_unused:UNUSED_PAD src0_sel:DWORD src1_sel:BYTE_1
	v_cndmask_b32_e32 v56, v58, v56, vcc_lo
	v_and_b32_e32 v18, 7, v18
	v_lshl_add_u32 v56, v56, 23, 0x3b800000
	v_cndmask_b32_e32 v18, v97, v18, vcc_lo
	v_and_b32_e32 v97, 0x80000000, v57
	v_lshlrev_b32_e32 v18, 20, v18
	v_or3_b32 v18, v97, v56, v18
.LBB2_705:                              ;   in Loop: Header=BB2_625 Depth=2
	s_or_b32 exec_lo, exec_lo, s22
	v_mul_f32_e32 v18, v0, v18
	v_and_b32_e32 v97, 0x7f800000, v18
	v_cmp_ne_u32_e32 vcc_lo, 0x7f800000, v97
	v_mov_b32_e32 v97, 0x8000
	s_and_saveexec_b32 s22, vcc_lo
	s_cbranch_execz .LBB2_713
; %bb.706:                              ;   in Loop: Header=BB2_625 Depth=2
	v_mov_b32_e32 v97, 0
	s_mov_b32 s23, exec_lo
	v_cmpx_ne_u32_e32 0, v18
	s_cbranch_execz .LBB2_712
; %bb.707:                              ;   in Loop: Header=BB2_625 Depth=2
	v_bfe_u32 v97, v18, 23, 8
	v_and_b32_e32 v56, 0x7fffff, v18
	v_sub_nc_u32_e32 v57, 0x78, v97
	v_cmp_gt_u32_e32 vcc_lo, 0x79, v97
	v_or_b32_e32 v58, 0x800000, v56
	v_cndmask_b32_e32 v57, 0, v57, vcc_lo
	v_cmp_eq_u32_e32 vcc_lo, 0, v97
	v_add_nc_u32_e32 v97, 0xffffff89, v97
	v_cndmask_b32_e64 v57, v57, 0x77, vcc_lo
	v_cndmask_b32_e32 v56, v58, v56, vcc_lo
	v_cndmask_b32_e64 v97, v97, 0xffffff8a, vcc_lo
	v_lshl_add_u32 v58, 0x100000, v57, -1
	v_lshrrev_b32_e32 v59, v57, v56
	v_lshlrev_b32_e64 v61, v57, 0x80000
	v_add_nc_u32_e32 v57, v57, v97
	v_and_b32_e32 v56, v58, v56
	v_bfe_u32 v60, v59, 20, 1
	v_cmp_eq_u32_e64 s10, v56, v61
	v_add_nc_u32_e32 v58, -1, v60
	v_cndmask_b32_e64 v56, 0, v58, s10
	v_lshrrev_b32_e32 v58, 23, v59
	s_mov_b32 s10, exec_lo
	v_add_nc_u32_e32 v56, v56, v59
	v_xor_b32_e32 v58, 1, v58
	v_and_b32_e32 v97, 0xfffff, v56
	v_add_nc_u32_e32 v56, v97, v59
                                        ; implicit-def: $vgpr97
	v_cmpx_ne_u32_e64 v57, v58
	s_xor_b32 s10, exec_lo, s10
; %bb.708:                              ;   in Loop: Header=BB2_625 Depth=2
	v_cmp_lt_u32_e32 vcc_lo, 0xffffff, v56
	v_sub_nc_u32_e32 v97, v57, v58
	v_cndmask_b32_e64 v57, 0, 1, vcc_lo
	v_add_co_ci_u32_e64 v97, null, 0, v97, vcc_lo
	v_lshrrev_b32_e32 v56, v57, v56
; %bb.709:                              ;   in Loop: Header=BB2_625 Depth=2
	s_andn2_saveexec_b32 s10, s10
; %bb.710:                              ;   in Loop: Header=BB2_625 Depth=2
	v_bfe_u32 v97, v56, 23, 1
; %bb.711:                              ;   in Loop: Header=BB2_625 Depth=2
	s_or_b32 exec_lo, exec_lo, s10
	v_lshrrev_b32_e32 v56, 20, v56
	v_min_i32_e32 v57, 15, v97
	v_cmp_gt_i32_e32 vcc_lo, 16, v97
	v_and_b32_sdwa v18, v18, v41 dst_sel:DWORD dst_unused:UNUSED_PAD src0_sel:BYTE_3 src1_sel:DWORD
	v_lshlrev_b32_e32 v57, 3, v57
	v_cndmask_b32_e32 v56, 7, v56, vcc_lo
	v_and_b32_e32 v57, 0xf8, v57
	v_and_b32_e32 v58, 7, v56
	v_or_b32_e32 v97, v97, v56
	v_or3_b32 v18, v18, v57, v58
	v_cmp_ne_u32_e32 vcc_lo, 0, v97
	v_lshlrev_b32_e32 v18, 8, v18
	v_cndmask_b32_e32 v97, 0, v18, vcc_lo
.LBB2_712:                              ;   in Loop: Header=BB2_625 Depth=2
	s_or_b32 exec_lo, exec_lo, s23
.LBB2_713:                              ;   in Loop: Header=BB2_625 Depth=2
	s_or_b32 exec_lo, exec_lo, s22
	v_and_b32_sdwa v56, v81, v44 dst_sel:DWORD dst_unused:UNUSED_PAD src0_sel:WORD_1 src1_sel:DWORD
	s_mov_b32 s10, 0
	s_mov_b32 s22, exec_lo
	v_cmpx_lt_i16_e32 0x7f, v56
	s_xor_b32 s22, exec_lo, s22
	s_cbranch_execnz .LBB2_907
; %bb.714:                              ;   in Loop: Header=BB2_625 Depth=2
	s_or_saveexec_b32 s22, s22
	v_mov_b32_e32 v18, 0x7f800001
	s_xor_b32 exec_lo, exec_lo, s22
	s_cbranch_execnz .LBB2_910
.LBB2_715:                              ;   in Loop: Header=BB2_625 Depth=2
	s_or_b32 exec_lo, exec_lo, s22
	s_and_saveexec_b32 s22, s10
	s_cbranch_execz .LBB2_717
.LBB2_716:                              ;   in Loop: Header=BB2_625 Depth=2
	v_bfe_u32 v18, v81, 16, 3
	v_bfe_u32 v58, v81, 19, 4
	v_lshlrev_b32_e32 v59, 8, v81
	v_ffbh_u32_e32 v56, v18
	v_cmp_eq_u32_e32 vcc_lo, 0, v58
	v_min_u32_e32 v56, 32, v56
	v_subrev_nc_u32_e32 v57, 28, v56
	v_sub_nc_u32_e32 v56, 29, v56
	v_lshlrev_b32_sdwa v57, v57, v81 dst_sel:DWORD dst_unused:UNUSED_PAD src0_sel:DWORD src1_sel:WORD_1
	v_cndmask_b32_e32 v56, v58, v56, vcc_lo
	v_and_b32_e32 v57, 7, v57
	v_lshl_add_u32 v56, v56, 23, 0x3b800000
	v_cndmask_b32_e32 v18, v18, v57, vcc_lo
	v_and_b32_e32 v57, 0x80000000, v59
	v_lshlrev_b32_e32 v18, 20, v18
	v_or3_b32 v18, v57, v56, v18
.LBB2_717:                              ;   in Loop: Header=BB2_625 Depth=2
	s_or_b32 exec_lo, exec_lo, s22
	v_mul_f32_e32 v56, v0, v18
	v_and_b32_e32 v18, 0x7f800000, v56
	v_cmp_ne_u32_e32 vcc_lo, 0x7f800000, v18
	v_mov_b32_e32 v18, 0x80
	s_and_saveexec_b32 s22, vcc_lo
	s_cbranch_execz .LBB2_725
; %bb.718:                              ;   in Loop: Header=BB2_625 Depth=2
	v_mov_b32_e32 v18, 0
	s_mov_b32 s23, exec_lo
	v_cmpx_ne_u32_e32 0, v56
	s_cbranch_execz .LBB2_724
; %bb.719:                              ;   in Loop: Header=BB2_625 Depth=2
	v_bfe_u32 v18, v56, 23, 8
	v_and_b32_e32 v57, 0x7fffff, v56
	v_sub_nc_u32_e32 v58, 0x78, v18
	v_cmp_gt_u32_e32 vcc_lo, 0x79, v18
	v_or_b32_e32 v59, 0x800000, v57
	v_cndmask_b32_e32 v58, 0, v58, vcc_lo
	v_cmp_eq_u32_e32 vcc_lo, 0, v18
	v_add_nc_u32_e32 v18, 0xffffff89, v18
	v_cndmask_b32_e64 v58, v58, 0x77, vcc_lo
	v_cndmask_b32_e32 v57, v59, v57, vcc_lo
	v_cndmask_b32_e64 v18, v18, 0xffffff8a, vcc_lo
	v_lshl_add_u32 v59, 0x100000, v58, -1
	v_lshrrev_b32_e32 v60, v58, v57
	v_lshlrev_b32_e64 v62, v58, 0x80000
	v_add_nc_u32_e32 v58, v58, v18
	v_and_b32_e32 v57, v59, v57
	v_bfe_u32 v61, v60, 20, 1
	v_cmp_eq_u32_e64 s10, v57, v62
	v_add_nc_u32_e32 v59, -1, v61
	v_cndmask_b32_e64 v57, 0, v59, s10
	v_lshrrev_b32_e32 v59, 23, v60
	s_mov_b32 s10, exec_lo
	v_add_nc_u32_e32 v57, v57, v60
	v_xor_b32_e32 v59, 1, v59
	v_and_b32_e32 v18, 0xfffff, v57
	v_add_nc_u32_e32 v57, v18, v60
                                        ; implicit-def: $vgpr18
	v_cmpx_ne_u32_e64 v58, v59
	s_xor_b32 s10, exec_lo, s10
; %bb.720:                              ;   in Loop: Header=BB2_625 Depth=2
	v_cmp_lt_u32_e32 vcc_lo, 0xffffff, v57
	v_sub_nc_u32_e32 v18, v58, v59
	v_cndmask_b32_e64 v58, 0, 1, vcc_lo
	v_add_co_ci_u32_e64 v18, null, 0, v18, vcc_lo
	v_lshrrev_b32_e32 v57, v58, v57
; %bb.721:                              ;   in Loop: Header=BB2_625 Depth=2
	s_andn2_saveexec_b32 s10, s10
; %bb.722:                              ;   in Loop: Header=BB2_625 Depth=2
	v_bfe_u32 v18, v57, 23, 1
; %bb.723:                              ;   in Loop: Header=BB2_625 Depth=2
	s_or_b32 exec_lo, exec_lo, s10
	v_lshrrev_b32_e32 v57, 20, v57
	v_min_i32_e32 v58, 15, v18
	v_cmp_gt_i32_e32 vcc_lo, 16, v18
	v_and_b32_sdwa v56, v56, v41 dst_sel:DWORD dst_unused:UNUSED_PAD src0_sel:BYTE_3 src1_sel:DWORD
	v_lshlrev_b32_e32 v58, 3, v58
	v_cndmask_b32_e32 v57, 7, v57, vcc_lo
	v_and_b32_e32 v58, 0xf8, v58
	v_and_b32_e32 v59, 7, v57
	v_or_b32_e32 v18, v18, v57
	v_or3_b32 v56, v58, v56, v59
	v_cmp_ne_u32_e32 vcc_lo, 0, v18
	v_cndmask_b32_e32 v18, 0, v56, vcc_lo
.LBB2_724:                              ;   in Loop: Header=BB2_625 Depth=2
	s_or_b32 exec_lo, exec_lo, s23
.LBB2_725:                              ;   in Loop: Header=BB2_625 Depth=2
	s_or_b32 exec_lo, exec_lo, s22
	v_cmp_gt_i16_sdwa s22, v81, v40 src0_sel:BYTE_3 src1_sel:DWORD
	s_mov_b32 s10, 0
	s_and_saveexec_b32 s23, s22
	s_xor_b32 s22, exec_lo, s23
	s_cbranch_execnz .LBB2_911
; %bb.726:                              ;   in Loop: Header=BB2_625 Depth=2
	s_or_saveexec_b32 s22, s22
	v_mov_b32_e32 v56, 0x7f800001
	s_xor_b32 exec_lo, exec_lo, s22
	s_cbranch_execnz .LBB2_914
.LBB2_727:                              ;   in Loop: Header=BB2_625 Depth=2
	s_or_b32 exec_lo, exec_lo, s22
	s_and_saveexec_b32 s22, s10
	s_cbranch_execz .LBB2_729
.LBB2_728:                              ;   in Loop: Header=BB2_625 Depth=2
	v_bfe_u32 v56, v81, 24, 3
	v_bfe_u32 v59, v81, 27, 4
	v_ffbh_u32_e32 v57, v56
	v_cmp_eq_u32_e32 vcc_lo, 0, v59
	v_min_u32_e32 v57, 32, v57
	v_subrev_nc_u32_e32 v58, 28, v57
	v_sub_nc_u32_e32 v57, 29, v57
	v_lshlrev_b32_sdwa v58, v58, v81 dst_sel:DWORD dst_unused:UNUSED_PAD src0_sel:DWORD src1_sel:BYTE_3
	v_cndmask_b32_e32 v57, v59, v57, vcc_lo
	v_and_b32_e32 v81, 0x80000000, v81
	v_and_b32_e32 v58, 7, v58
	v_lshl_add_u32 v57, v57, 23, 0x3b800000
	v_cndmask_b32_e32 v56, v56, v58, vcc_lo
	v_lshlrev_b32_e32 v56, 20, v56
	v_or3_b32 v56, v81, v57, v56
.LBB2_729:                              ;   in Loop: Header=BB2_625 Depth=2
	s_or_b32 exec_lo, exec_lo, s22
	v_mul_f32_e32 v56, v0, v56
	v_and_b32_e32 v81, 0x7f800000, v56
	v_cmp_ne_u32_e32 vcc_lo, 0x7f800000, v81
	v_mov_b32_e32 v81, 0x8000
	s_and_saveexec_b32 s22, vcc_lo
	s_cbranch_execz .LBB2_737
; %bb.730:                              ;   in Loop: Header=BB2_625 Depth=2
	v_mov_b32_e32 v81, 0
	s_mov_b32 s23, exec_lo
	v_cmpx_ne_u32_e32 0, v56
	s_cbranch_execz .LBB2_736
; %bb.731:                              ;   in Loop: Header=BB2_625 Depth=2
	v_bfe_u32 v81, v56, 23, 8
	v_and_b32_e32 v57, 0x7fffff, v56
	v_sub_nc_u32_e32 v58, 0x78, v81
	v_cmp_gt_u32_e32 vcc_lo, 0x79, v81
	v_or_b32_e32 v59, 0x800000, v57
	v_cndmask_b32_e32 v58, 0, v58, vcc_lo
	v_cmp_eq_u32_e32 vcc_lo, 0, v81
	v_add_nc_u32_e32 v81, 0xffffff89, v81
	v_cndmask_b32_e64 v58, v58, 0x77, vcc_lo
	v_cndmask_b32_e32 v57, v59, v57, vcc_lo
	v_cndmask_b32_e64 v81, v81, 0xffffff8a, vcc_lo
	v_lshl_add_u32 v59, 0x100000, v58, -1
	v_lshrrev_b32_e32 v60, v58, v57
	v_lshlrev_b32_e64 v62, v58, 0x80000
	v_add_nc_u32_e32 v58, v58, v81
	v_and_b32_e32 v57, v59, v57
	v_bfe_u32 v61, v60, 20, 1
	v_cmp_eq_u32_e64 s10, v57, v62
	v_add_nc_u32_e32 v59, -1, v61
	v_cndmask_b32_e64 v57, 0, v59, s10
	v_lshrrev_b32_e32 v59, 23, v60
	s_mov_b32 s10, exec_lo
	v_add_nc_u32_e32 v57, v57, v60
	v_xor_b32_e32 v59, 1, v59
	v_and_b32_e32 v81, 0xfffff, v57
	v_add_nc_u32_e32 v57, v81, v60
                                        ; implicit-def: $vgpr81
	v_cmpx_ne_u32_e64 v58, v59
	s_xor_b32 s10, exec_lo, s10
; %bb.732:                              ;   in Loop: Header=BB2_625 Depth=2
	v_cmp_lt_u32_e32 vcc_lo, 0xffffff, v57
	v_sub_nc_u32_e32 v81, v58, v59
	v_cndmask_b32_e64 v58, 0, 1, vcc_lo
	v_add_co_ci_u32_e64 v81, null, 0, v81, vcc_lo
	v_lshrrev_b32_e32 v57, v58, v57
; %bb.733:                              ;   in Loop: Header=BB2_625 Depth=2
	s_andn2_saveexec_b32 s10, s10
; %bb.734:                              ;   in Loop: Header=BB2_625 Depth=2
	v_bfe_u32 v81, v57, 23, 1
; %bb.735:                              ;   in Loop: Header=BB2_625 Depth=2
	s_or_b32 exec_lo, exec_lo, s10
	v_lshrrev_b32_e32 v57, 20, v57
	v_min_i32_e32 v58, 15, v81
	v_cmp_gt_i32_e32 vcc_lo, 16, v81
	v_and_b32_sdwa v56, v56, v41 dst_sel:DWORD dst_unused:UNUSED_PAD src0_sel:BYTE_3 src1_sel:DWORD
	v_lshlrev_b32_e32 v58, 3, v58
	v_cndmask_b32_e32 v57, 7, v57, vcc_lo
	v_and_b32_e32 v58, 0xf8, v58
	v_and_b32_e32 v59, 7, v57
	v_or_b32_e32 v81, v81, v57
	v_or3_b32 v56, v56, v58, v59
	v_cmp_ne_u32_e32 vcc_lo, 0, v81
	v_lshlrev_b32_e32 v56, 8, v56
	v_cndmask_b32_e32 v81, 0, v56, vcc_lo
.LBB2_736:                              ;   in Loop: Header=BB2_625 Depth=2
	s_or_b32 exec_lo, exec_lo, s23
.LBB2_737:                              ;   in Loop: Header=BB2_625 Depth=2
	s_or_b32 exec_lo, exec_lo, s22
	v_cmp_gt_i16_sdwa s22, v17, v40 src0_sel:BYTE_0 src1_sel:DWORD
	s_mov_b32 s10, 0
	s_and_saveexec_b32 s23, s22
	s_xor_b32 s22, exec_lo, s23
	s_cbranch_execnz .LBB2_915
; %bb.738:                              ;   in Loop: Header=BB2_625 Depth=2
	s_or_saveexec_b32 s22, s22
	v_mov_b32_e32 v57, 0x7f800001
	s_xor_b32 exec_lo, exec_lo, s22
	s_cbranch_execnz .LBB2_918
.LBB2_739:                              ;   in Loop: Header=BB2_625 Depth=2
	s_or_b32 exec_lo, exec_lo, s22
	s_and_saveexec_b32 s22, s10
	s_cbranch_execz .LBB2_741
.LBB2_740:                              ;   in Loop: Header=BB2_625 Depth=2
	v_and_b32_e32 v56, 7, v17
	v_bfe_u32 v59, v17, 3, 4
	v_lshlrev_b32_e32 v60, 24, v17
	v_ffbh_u32_e32 v57, v56
	v_cmp_eq_u32_e32 vcc_lo, 0, v59
	v_min_u32_e32 v57, 32, v57
	v_subrev_nc_u32_e32 v58, 28, v57
	v_sub_nc_u32_e32 v57, 29, v57
	v_lshlrev_b32_e32 v58, v58, v17
	v_cndmask_b32_e32 v57, v59, v57, vcc_lo
	v_and_b32_e32 v58, 7, v58
	v_lshl_add_u32 v57, v57, 23, 0x3b800000
	v_cndmask_b32_e32 v56, v56, v58, vcc_lo
	v_and_b32_e32 v58, 0x80000000, v60
	v_lshlrev_b32_e32 v56, 20, v56
	v_or3_b32 v57, v58, v57, v56
.LBB2_741:                              ;   in Loop: Header=BB2_625 Depth=2
	s_or_b32 exec_lo, exec_lo, s22
	v_or_b32_e32 v56, v82, v20
	s_mov_b32 s10, 0
	v_cmp_gt_i16_sdwa s22, v56, v40 src0_sel:BYTE_0 src1_sel:DWORD
	s_and_saveexec_b32 s23, s22
	s_xor_b32 s22, exec_lo, s23
	s_cbranch_execnz .LBB2_919
; %bb.742:                              ;   in Loop: Header=BB2_625 Depth=2
	s_or_saveexec_b32 s22, s22
	v_mov_b32_e32 v20, 0x7f800001
	s_xor_b32 exec_lo, exec_lo, s22
	s_cbranch_execnz .LBB2_922
.LBB2_743:                              ;   in Loop: Header=BB2_625 Depth=2
	s_or_b32 exec_lo, exec_lo, s22
	s_and_saveexec_b32 s22, s10
	s_cbranch_execz .LBB2_745
.LBB2_744:                              ;   in Loop: Header=BB2_625 Depth=2
	v_and_b32_e32 v20, 7, v56
	v_bfe_u32 v59, v56, 3, 4
	v_lshlrev_b32_e32 v60, 24, v56
	v_ffbh_u32_e32 v82, v20
	v_cmp_eq_u32_e32 vcc_lo, 0, v59
	v_min_u32_e32 v82, 32, v82
	v_subrev_nc_u32_e32 v58, 28, v82
	v_sub_nc_u32_e32 v82, 29, v82
	v_lshlrev_b32_e32 v58, v58, v56
	v_cndmask_b32_e32 v82, v59, v82, vcc_lo
	v_and_b32_e32 v58, 7, v58
	v_lshl_add_u32 v82, v82, 23, 0x3b800000
	v_cndmask_b32_e32 v20, v20, v58, vcc_lo
	v_and_b32_e32 v58, 0x80000000, v60
	v_lshlrev_b32_e32 v20, 20, v20
	v_or3_b32 v20, v58, v82, v20
.LBB2_745:                              ;   in Loop: Header=BB2_625 Depth=2
	s_or_b32 exec_lo, exec_lo, s22
	v_add_f32_e32 v82, v57, v20
	v_and_b32_e32 v20, 0x7f800000, v82
	v_cmp_ne_u32_e32 vcc_lo, 0x7f800000, v20
	v_mov_b32_e32 v20, 0x80
	s_and_saveexec_b32 s22, vcc_lo
	s_cbranch_execz .LBB2_753
; %bb.746:                              ;   in Loop: Header=BB2_625 Depth=2
	v_mov_b32_e32 v20, 0
	s_mov_b32 s23, exec_lo
	v_cmpx_ne_u32_e32 0, v82
	s_cbranch_execz .LBB2_752
; %bb.747:                              ;   in Loop: Header=BB2_625 Depth=2
	v_bfe_u32 v20, v82, 23, 8
	v_and_b32_e32 v57, 0x7fffff, v82
	v_sub_nc_u32_e32 v58, 0x78, v20
	v_cmp_gt_u32_e32 vcc_lo, 0x79, v20
	v_or_b32_e32 v59, 0x800000, v57
	v_cndmask_b32_e32 v58, 0, v58, vcc_lo
	v_cmp_eq_u32_e32 vcc_lo, 0, v20
	v_add_nc_u32_e32 v20, 0xffffff89, v20
	v_cndmask_b32_e64 v58, v58, 0x77, vcc_lo
	v_cndmask_b32_e32 v57, v59, v57, vcc_lo
	v_cndmask_b32_e64 v20, v20, 0xffffff8a, vcc_lo
	v_lshl_add_u32 v59, 0x100000, v58, -1
	v_lshrrev_b32_e32 v60, v58, v57
	v_lshlrev_b32_e64 v62, v58, 0x80000
	v_add_nc_u32_e32 v58, v58, v20
	v_and_b32_e32 v57, v59, v57
	v_bfe_u32 v61, v60, 20, 1
	v_cmp_eq_u32_e64 s10, v57, v62
	v_add_nc_u32_e32 v59, -1, v61
	v_cndmask_b32_e64 v57, 0, v59, s10
	v_lshrrev_b32_e32 v59, 23, v60
	s_mov_b32 s10, exec_lo
	v_add_nc_u32_e32 v57, v57, v60
	v_xor_b32_e32 v59, 1, v59
	v_and_b32_e32 v20, 0xfffff, v57
	v_add_nc_u32_e32 v57, v20, v60
                                        ; implicit-def: $vgpr20
	v_cmpx_ne_u32_e64 v58, v59
	s_xor_b32 s10, exec_lo, s10
; %bb.748:                              ;   in Loop: Header=BB2_625 Depth=2
	v_cmp_lt_u32_e32 vcc_lo, 0xffffff, v57
	v_sub_nc_u32_e32 v20, v58, v59
	v_cndmask_b32_e64 v58, 0, 1, vcc_lo
	v_add_co_ci_u32_e64 v20, null, 0, v20, vcc_lo
	v_lshrrev_b32_e32 v57, v58, v57
; %bb.749:                              ;   in Loop: Header=BB2_625 Depth=2
	s_andn2_saveexec_b32 s10, s10
; %bb.750:                              ;   in Loop: Header=BB2_625 Depth=2
	v_bfe_u32 v20, v57, 23, 1
; %bb.751:                              ;   in Loop: Header=BB2_625 Depth=2
	s_or_b32 exec_lo, exec_lo, s10
	v_lshrrev_b32_e32 v57, 20, v57
	v_min_i32_e32 v58, 15, v20
	v_cmp_gt_i32_e32 vcc_lo, 16, v20
	v_and_b32_sdwa v82, v82, v41 dst_sel:DWORD dst_unused:UNUSED_PAD src0_sel:BYTE_3 src1_sel:DWORD
	v_lshlrev_b32_e32 v58, 3, v58
	v_cndmask_b32_e32 v57, 7, v57, vcc_lo
	v_and_b32_e32 v58, 0xf8, v58
	v_and_b32_e32 v59, 7, v57
	v_or_b32_e32 v20, v20, v57
	v_or3_b32 v82, v58, v82, v59
	v_cmp_ne_u32_e32 vcc_lo, 0, v20
	v_cndmask_b32_e32 v20, 0, v82, vcc_lo
.LBB2_752:                              ;   in Loop: Header=BB2_625 Depth=2
	s_or_b32 exec_lo, exec_lo, s23
.LBB2_753:                              ;   in Loop: Header=BB2_625 Depth=2
	s_or_b32 exec_lo, exec_lo, s22
	v_cmp_gt_i16_sdwa s22, v17, v40 src0_sel:BYTE_1 src1_sel:DWORD
	s_mov_b32 s10, 0
	s_and_saveexec_b32 s23, s22
	s_xor_b32 s22, exec_lo, s23
	s_cbranch_execnz .LBB2_923
; %bb.754:                              ;   in Loop: Header=BB2_625 Depth=2
	s_or_saveexec_b32 s22, s22
	v_mov_b32_e32 v82, 0x7f800001
	s_xor_b32 exec_lo, exec_lo, s22
	s_cbranch_execnz .LBB2_926
.LBB2_755:                              ;   in Loop: Header=BB2_625 Depth=2
	s_or_b32 exec_lo, exec_lo, s22
	s_and_saveexec_b32 s22, s10
	s_cbranch_execz .LBB2_757
.LBB2_756:                              ;   in Loop: Header=BB2_625 Depth=2
	v_and_b32_sdwa v82, v42, v17 dst_sel:DWORD dst_unused:UNUSED_PAD src0_sel:DWORD src1_sel:BYTE_1
	v_and_b32_e32 v57, 7, v82
	v_bfe_u32 v60, v82, 3, 4
	v_ffbh_u32_e32 v58, v57
	v_cmp_eq_u32_e32 vcc_lo, 0, v60
	v_min_u32_e32 v58, 32, v58
	v_subrev_nc_u32_e32 v59, 28, v58
	v_sub_nc_u32_e32 v58, 29, v58
	v_lshlrev_b32_e32 v82, v59, v82
	v_lshlrev_b32_sdwa v59, v43, v17 dst_sel:DWORD dst_unused:UNUSED_PAD src0_sel:DWORD src1_sel:BYTE_1
	v_cndmask_b32_e32 v58, v60, v58, vcc_lo
	v_and_b32_e32 v82, 7, v82
	v_lshl_add_u32 v58, v58, 23, 0x3b800000
	v_cndmask_b32_e32 v82, v57, v82, vcc_lo
	v_and_b32_e32 v57, 0x80000000, v59
	v_lshlrev_b32_e32 v82, 20, v82
	v_or3_b32 v82, v57, v58, v82
.LBB2_757:                              ;   in Loop: Header=BB2_625 Depth=2
	s_or_b32 exec_lo, exec_lo, s22
	v_cmp_gt_i16_sdwa s22, v56, v40 src0_sel:BYTE_1 src1_sel:DWORD
	s_mov_b32 s10, 0
	s_and_saveexec_b32 s23, s22
	s_xor_b32 s22, exec_lo, s23
	s_cbranch_execnz .LBB2_927
; %bb.758:                              ;   in Loop: Header=BB2_625 Depth=2
	s_or_saveexec_b32 s22, s22
	v_mov_b32_e32 v57, 0x7f800001
	s_xor_b32 exec_lo, exec_lo, s22
	s_cbranch_execnz .LBB2_930
.LBB2_759:                              ;   in Loop: Header=BB2_625 Depth=2
	s_or_b32 exec_lo, exec_lo, s22
	s_and_saveexec_b32 s22, s10
	s_cbranch_execz .LBB2_761
.LBB2_760:                              ;   in Loop: Header=BB2_625 Depth=2
	v_and_b32_sdwa v57, v42, v56 dst_sel:DWORD dst_unused:UNUSED_PAD src0_sel:DWORD src1_sel:BYTE_1
	v_and_b32_e32 v58, 7, v57
	v_bfe_u32 v61, v57, 3, 4
	v_ffbh_u32_e32 v59, v58
	v_cmp_eq_u32_e32 vcc_lo, 0, v61
	v_min_u32_e32 v59, 32, v59
	v_subrev_nc_u32_e32 v60, 28, v59
	v_sub_nc_u32_e32 v59, 29, v59
	v_lshlrev_b32_e32 v57, v60, v57
	v_lshlrev_b32_sdwa v60, v43, v56 dst_sel:DWORD dst_unused:UNUSED_PAD src0_sel:DWORD src1_sel:BYTE_1
	v_cndmask_b32_e32 v59, v61, v59, vcc_lo
	v_and_b32_e32 v57, 7, v57
	v_lshl_add_u32 v59, v59, 23, 0x3b800000
	v_cndmask_b32_e32 v57, v58, v57, vcc_lo
	v_and_b32_e32 v58, 0x80000000, v60
	v_lshlrev_b32_e32 v57, 20, v57
	v_or3_b32 v57, v58, v59, v57
.LBB2_761:                              ;   in Loop: Header=BB2_625 Depth=2
	s_or_b32 exec_lo, exec_lo, s22
	v_add_f32_e32 v57, v82, v57
	v_and_b32_e32 v82, 0x7f800000, v57
	v_cmp_ne_u32_e32 vcc_lo, 0x7f800000, v82
	v_mov_b32_e32 v82, 0x8000
	s_and_saveexec_b32 s22, vcc_lo
	s_cbranch_execz .LBB2_769
; %bb.762:                              ;   in Loop: Header=BB2_625 Depth=2
	v_mov_b32_e32 v82, 0
	s_mov_b32 s23, exec_lo
	v_cmpx_ne_u32_e32 0, v57
	s_cbranch_execz .LBB2_768
; %bb.763:                              ;   in Loop: Header=BB2_625 Depth=2
	v_bfe_u32 v58, v57, 23, 8
	v_and_b32_e32 v82, 0x7fffff, v57
	v_cmp_gt_u32_e64 s10, 0x79, v58
	v_sub_nc_u32_e32 v59, 0x78, v58
	v_cmp_eq_u32_e32 vcc_lo, 0, v58
	v_or_b32_e32 v60, 0x800000, v82
	v_add_nc_u32_e32 v58, 0xffffff89, v58
	v_cndmask_b32_e64 v59, 0, v59, s10
	v_cndmask_b32_e32 v82, v60, v82, vcc_lo
	v_cndmask_b32_e64 v58, v58, 0xffffff8a, vcc_lo
	v_cndmask_b32_e64 v59, v59, 0x77, vcc_lo
	v_lshl_add_u32 v60, 0x100000, v59, -1
	v_lshlrev_b32_e64 v61, v59, 0x80000
	v_and_b32_e32 v60, v60, v82
	v_lshrrev_b32_e32 v82, v59, v82
	v_add_nc_u32_e32 v59, v59, v58
	v_cmp_eq_u32_e64 s10, v60, v61
	v_lshrrev_b32_e32 v58, 23, v82
	v_xor_b32_e32 v60, 1, v58
	v_bfe_u32 v58, v82, 20, 1
	v_add_nc_u32_e32 v58, -1, v58
	v_cndmask_b32_e64 v58, 0, v58, s10
	s_mov_b32 s10, exec_lo
	v_add_nc_u32_e32 v58, v58, v82
	v_and_b32_e32 v58, 0xfffff, v58
	v_add_nc_u32_e32 v58, v58, v82
                                        ; implicit-def: $vgpr82
	v_cmpx_ne_u32_e64 v59, v60
	s_xor_b32 s10, exec_lo, s10
; %bb.764:                              ;   in Loop: Header=BB2_625 Depth=2
	v_cmp_lt_u32_e32 vcc_lo, 0xffffff, v58
	v_sub_nc_u32_e32 v82, v59, v60
	v_cndmask_b32_e64 v59, 0, 1, vcc_lo
	v_add_co_ci_u32_e64 v82, null, 0, v82, vcc_lo
	v_lshrrev_b32_e32 v58, v59, v58
; %bb.765:                              ;   in Loop: Header=BB2_625 Depth=2
	s_andn2_saveexec_b32 s10, s10
; %bb.766:                              ;   in Loop: Header=BB2_625 Depth=2
	v_bfe_u32 v82, v58, 23, 1
; %bb.767:                              ;   in Loop: Header=BB2_625 Depth=2
	s_or_b32 exec_lo, exec_lo, s10
	v_lshrrev_b32_e32 v58, 20, v58
	v_min_i32_e32 v59, 15, v82
	v_cmp_gt_i32_e32 vcc_lo, 16, v82
	v_and_b32_sdwa v57, v57, v41 dst_sel:DWORD dst_unused:UNUSED_PAD src0_sel:BYTE_3 src1_sel:DWORD
	v_lshlrev_b32_e32 v59, 3, v59
	v_cndmask_b32_e32 v58, 7, v58, vcc_lo
	v_and_b32_e32 v59, 0xf8, v59
	v_and_b32_e32 v60, 7, v58
	v_or_b32_e32 v82, v82, v58
	v_or3_b32 v57, v57, v59, v60
	v_cmp_ne_u32_e32 vcc_lo, 0, v82
	v_lshlrev_b32_e32 v57, 8, v57
	v_cndmask_b32_e32 v82, 0, v57, vcc_lo
.LBB2_768:                              ;   in Loop: Header=BB2_625 Depth=2
	s_or_b32 exec_lo, exec_lo, s23
.LBB2_769:                              ;   in Loop: Header=BB2_625 Depth=2
	s_or_b32 exec_lo, exec_lo, s22
	v_and_b32_sdwa v58, v17, v44 dst_sel:DWORD dst_unused:UNUSED_PAD src0_sel:WORD_1 src1_sel:DWORD
	s_mov_b32 s10, 0
	s_mov_b32 s22, exec_lo
	v_cmpx_lt_i16_e32 0x7f, v58
	s_xor_b32 s22, exec_lo, s22
	s_cbranch_execnz .LBB2_931
; %bb.770:                              ;   in Loop: Header=BB2_625 Depth=2
	s_or_saveexec_b32 s22, s22
	v_mov_b32_e32 v57, 0x7f800001
	s_xor_b32 exec_lo, exec_lo, s22
	s_cbranch_execnz .LBB2_934
.LBB2_771:                              ;   in Loop: Header=BB2_625 Depth=2
	s_or_b32 exec_lo, exec_lo, s22
	s_and_saveexec_b32 s22, s10
	s_cbranch_execz .LBB2_773
.LBB2_772:                              ;   in Loop: Header=BB2_625 Depth=2
	v_bfe_u32 v57, v17, 16, 3
	v_bfe_u32 v60, v17, 19, 4
	v_lshlrev_b32_e32 v61, 8, v17
	v_ffbh_u32_e32 v58, v57
	v_cmp_eq_u32_e32 vcc_lo, 0, v60
	v_min_u32_e32 v58, 32, v58
	v_subrev_nc_u32_e32 v59, 28, v58
	v_sub_nc_u32_e32 v58, 29, v58
	v_lshlrev_b32_sdwa v59, v59, v17 dst_sel:DWORD dst_unused:UNUSED_PAD src0_sel:DWORD src1_sel:WORD_1
	v_cndmask_b32_e32 v58, v60, v58, vcc_lo
	v_and_b32_e32 v59, 7, v59
	v_lshl_add_u32 v58, v58, 23, 0x3b800000
	v_cndmask_b32_e32 v57, v57, v59, vcc_lo
	v_and_b32_e32 v59, 0x80000000, v61
	v_lshlrev_b32_e32 v57, 20, v57
	v_or3_b32 v57, v59, v58, v57
.LBB2_773:                              ;   in Loop: Header=BB2_625 Depth=2
	s_or_b32 exec_lo, exec_lo, s22
	v_or_b32_e32 v96, v47, v96
	s_mov_b32 s10, 0
	v_cmp_gt_i16_sdwa s22, v96, v40 src0_sel:BYTE_0 src1_sel:DWORD
	s_and_saveexec_b32 s23, s22
	s_xor_b32 s22, exec_lo, s23
	s_cbranch_execnz .LBB2_935
; %bb.774:                              ;   in Loop: Header=BB2_625 Depth=2
	s_or_saveexec_b32 s22, s22
	v_mov_b32_e32 v58, 0x7f800001
	s_xor_b32 exec_lo, exec_lo, s22
	s_cbranch_execnz .LBB2_938
.LBB2_775:                              ;   in Loop: Header=BB2_625 Depth=2
	s_or_b32 exec_lo, exec_lo, s22
	v_lshl_or_b32 v47, v96, 16, v56
	s_and_saveexec_b32 s22, s10
	s_cbranch_execz .LBB2_777
.LBB2_776:                              ;   in Loop: Header=BB2_625 Depth=2
	v_bfe_u32 v96, v47, 16, 3
	v_bfe_u32 v59, v47, 19, 4
	v_lshlrev_b32_e32 v60, 8, v47
	v_ffbh_u32_e32 v56, v96
	v_cmp_eq_u32_e32 vcc_lo, 0, v59
	v_min_u32_e32 v56, 32, v56
	v_subrev_nc_u32_e32 v58, 28, v56
	v_sub_nc_u32_e32 v56, 29, v56
	v_lshlrev_b32_sdwa v58, v58, v47 dst_sel:DWORD dst_unused:UNUSED_PAD src0_sel:DWORD src1_sel:WORD_1
	v_cndmask_b32_e32 v56, v59, v56, vcc_lo
	v_and_b32_e32 v58, 7, v58
	v_lshl_add_u32 v56, v56, 23, 0x3b800000
	v_cndmask_b32_e32 v96, v96, v58, vcc_lo
	v_and_b32_e32 v58, 0x80000000, v60
	v_lshlrev_b32_e32 v96, 20, v96
	v_or3_b32 v58, v58, v56, v96
.LBB2_777:                              ;   in Loop: Header=BB2_625 Depth=2
	s_or_b32 exec_lo, exec_lo, s22
	v_add_f32_e32 v56, v57, v58
	v_and_b32_e32 v96, 0x7f800000, v56
	v_cmp_ne_u32_e32 vcc_lo, 0x7f800000, v96
	v_mov_b32_e32 v96, 0x80
	s_and_saveexec_b32 s22, vcc_lo
	s_cbranch_execz .LBB2_785
; %bb.778:                              ;   in Loop: Header=BB2_625 Depth=2
	v_mov_b32_e32 v96, 0
	s_mov_b32 s23, exec_lo
	v_cmpx_ne_u32_e32 0, v56
	s_cbranch_execz .LBB2_784
; %bb.779:                              ;   in Loop: Header=BB2_625 Depth=2
	v_bfe_u32 v96, v56, 23, 8
	v_and_b32_e32 v57, 0x7fffff, v56
	v_sub_nc_u32_e32 v58, 0x78, v96
	v_cmp_gt_u32_e32 vcc_lo, 0x79, v96
	v_or_b32_e32 v59, 0x800000, v57
	v_cndmask_b32_e32 v58, 0, v58, vcc_lo
	v_cmp_eq_u32_e32 vcc_lo, 0, v96
	v_add_nc_u32_e32 v96, 0xffffff89, v96
	v_cndmask_b32_e64 v58, v58, 0x77, vcc_lo
	v_cndmask_b32_e32 v57, v59, v57, vcc_lo
	v_cndmask_b32_e64 v96, v96, 0xffffff8a, vcc_lo
	v_lshl_add_u32 v59, 0x100000, v58, -1
	v_lshrrev_b32_e32 v60, v58, v57
	v_lshlrev_b32_e64 v62, v58, 0x80000
	v_add_nc_u32_e32 v58, v58, v96
	v_and_b32_e32 v57, v59, v57
	v_bfe_u32 v61, v60, 20, 1
	v_cmp_eq_u32_e64 s10, v57, v62
	v_add_nc_u32_e32 v59, -1, v61
	v_cndmask_b32_e64 v57, 0, v59, s10
	v_lshrrev_b32_e32 v59, 23, v60
	s_mov_b32 s10, exec_lo
	v_add_nc_u32_e32 v57, v57, v60
	v_xor_b32_e32 v59, 1, v59
	v_and_b32_e32 v96, 0xfffff, v57
	v_add_nc_u32_e32 v57, v96, v60
                                        ; implicit-def: $vgpr96
	v_cmpx_ne_u32_e64 v58, v59
	s_xor_b32 s10, exec_lo, s10
; %bb.780:                              ;   in Loop: Header=BB2_625 Depth=2
	v_cmp_lt_u32_e32 vcc_lo, 0xffffff, v57
	v_sub_nc_u32_e32 v96, v58, v59
	v_cndmask_b32_e64 v58, 0, 1, vcc_lo
	v_add_co_ci_u32_e64 v96, null, 0, v96, vcc_lo
	v_lshrrev_b32_e32 v57, v58, v57
; %bb.781:                              ;   in Loop: Header=BB2_625 Depth=2
	s_andn2_saveexec_b32 s10, s10
; %bb.782:                              ;   in Loop: Header=BB2_625 Depth=2
	v_bfe_u32 v96, v57, 23, 1
; %bb.783:                              ;   in Loop: Header=BB2_625 Depth=2
	s_or_b32 exec_lo, exec_lo, s10
	v_lshrrev_b32_e32 v57, 20, v57
	v_min_i32_e32 v58, 15, v96
	v_cmp_gt_i32_e32 vcc_lo, 16, v96
	v_and_b32_sdwa v56, v56, v41 dst_sel:DWORD dst_unused:UNUSED_PAD src0_sel:BYTE_3 src1_sel:DWORD
	v_lshlrev_b32_e32 v58, 3, v58
	v_cndmask_b32_e32 v57, 7, v57, vcc_lo
	v_and_b32_e32 v58, 0xf8, v58
	v_and_b32_e32 v59, 7, v57
	v_or_b32_e32 v96, v96, v57
	v_or3_b32 v56, v58, v56, v59
	v_cmp_ne_u32_e32 vcc_lo, 0, v96
	v_cndmask_b32_e32 v96, 0, v56, vcc_lo
.LBB2_784:                              ;   in Loop: Header=BB2_625 Depth=2
	s_or_b32 exec_lo, exec_lo, s23
.LBB2_785:                              ;   in Loop: Header=BB2_625 Depth=2
	s_or_b32 exec_lo, exec_lo, s22
	v_cmp_gt_i16_sdwa s22, v17, v40 src0_sel:BYTE_3 src1_sel:DWORD
	s_mov_b32 s10, 0
	s_and_saveexec_b32 s23, s22
	s_xor_b32 s22, exec_lo, s23
	s_cbranch_execnz .LBB2_939
; %bb.786:                              ;   in Loop: Header=BB2_625 Depth=2
	s_or_saveexec_b32 s22, s22
	v_mov_b32_e32 v56, 0x7f800001
	s_xor_b32 exec_lo, exec_lo, s22
	s_cbranch_execnz .LBB2_942
.LBB2_787:                              ;   in Loop: Header=BB2_625 Depth=2
	s_or_b32 exec_lo, exec_lo, s22
	s_and_saveexec_b32 s22, s10
	s_cbranch_execz .LBB2_789
.LBB2_788:                              ;   in Loop: Header=BB2_625 Depth=2
	v_bfe_u32 v56, v17, 24, 3
	v_bfe_u32 v59, v17, 27, 4
	v_ffbh_u32_e32 v57, v56
	v_cmp_eq_u32_e32 vcc_lo, 0, v59
	v_min_u32_e32 v57, 32, v57
	v_subrev_nc_u32_e32 v58, 28, v57
	v_sub_nc_u32_e32 v57, 29, v57
	v_lshlrev_b32_sdwa v58, v58, v17 dst_sel:DWORD dst_unused:UNUSED_PAD src0_sel:DWORD src1_sel:BYTE_3
	v_cndmask_b32_e32 v57, v59, v57, vcc_lo
	v_and_b32_e32 v17, 0x80000000, v17
	v_and_b32_e32 v58, 7, v58
	v_lshl_add_u32 v57, v57, 23, 0x3b800000
	v_cndmask_b32_e32 v56, v56, v58, vcc_lo
	v_lshlrev_b32_e32 v56, 20, v56
	v_or3_b32 v56, v17, v57, v56
.LBB2_789:                              ;   in Loop: Header=BB2_625 Depth=2
	s_or_b32 exec_lo, exec_lo, s22
	v_cmp_gt_i16_sdwa s22, v47, v40 src0_sel:BYTE_3 src1_sel:DWORD
	s_mov_b32 s10, 0
	s_and_saveexec_b32 s23, s22
	s_xor_b32 s22, exec_lo, s23
	s_cbranch_execnz .LBB2_943
; %bb.790:                              ;   in Loop: Header=BB2_625 Depth=2
	s_or_saveexec_b32 s22, s22
	v_mov_b32_e32 v17, 0x7f800001
	s_xor_b32 exec_lo, exec_lo, s22
	s_cbranch_execnz .LBB2_946
.LBB2_791:                              ;   in Loop: Header=BB2_625 Depth=2
	s_or_b32 exec_lo, exec_lo, s22
	s_and_saveexec_b32 s22, s10
	s_cbranch_execz .LBB2_793
.LBB2_792:                              ;   in Loop: Header=BB2_625 Depth=2
	v_bfe_u32 v17, v47, 24, 3
	v_bfe_u32 v59, v47, 27, 4
	v_ffbh_u32_e32 v57, v17
	v_cmp_eq_u32_e32 vcc_lo, 0, v59
	v_min_u32_e32 v57, 32, v57
	v_subrev_nc_u32_e32 v58, 28, v57
	v_sub_nc_u32_e32 v57, 29, v57
	v_lshlrev_b32_sdwa v58, v58, v47 dst_sel:DWORD dst_unused:UNUSED_PAD src0_sel:DWORD src1_sel:BYTE_3
	v_cndmask_b32_e32 v57, v59, v57, vcc_lo
	v_and_b32_e32 v47, 0x80000000, v47
	v_and_b32_e32 v58, 7, v58
	v_lshl_add_u32 v57, v57, 23, 0x3b800000
	v_cndmask_b32_e32 v17, v17, v58, vcc_lo
	v_lshlrev_b32_e32 v17, 20, v17
	v_or3_b32 v17, v47, v57, v17
.LBB2_793:                              ;   in Loop: Header=BB2_625 Depth=2
	s_or_b32 exec_lo, exec_lo, s22
	v_add_f32_e32 v47, v56, v17
	v_and_b32_e32 v17, 0x7f800000, v47
	v_cmp_ne_u32_e32 vcc_lo, 0x7f800000, v17
	v_mov_b32_e32 v17, 0x8000
	s_and_saveexec_b32 s22, vcc_lo
	s_cbranch_execz .LBB2_801
; %bb.794:                              ;   in Loop: Header=BB2_625 Depth=2
	v_mov_b32_e32 v17, 0
	s_mov_b32 s23, exec_lo
	v_cmpx_ne_u32_e32 0, v47
	s_cbranch_execz .LBB2_800
; %bb.795:                              ;   in Loop: Header=BB2_625 Depth=2
	v_bfe_u32 v17, v47, 23, 8
	v_and_b32_e32 v56, 0x7fffff, v47
	v_sub_nc_u32_e32 v57, 0x78, v17
	v_cmp_gt_u32_e32 vcc_lo, 0x79, v17
	v_or_b32_e32 v58, 0x800000, v56
	v_cndmask_b32_e32 v57, 0, v57, vcc_lo
	v_cmp_eq_u32_e32 vcc_lo, 0, v17
	v_add_nc_u32_e32 v17, 0xffffff89, v17
	v_cndmask_b32_e64 v57, v57, 0x77, vcc_lo
	v_cndmask_b32_e32 v56, v58, v56, vcc_lo
	v_cndmask_b32_e64 v17, v17, 0xffffff8a, vcc_lo
	v_lshl_add_u32 v58, 0x100000, v57, -1
	v_lshrrev_b32_e32 v59, v57, v56
	v_lshlrev_b32_e64 v61, v57, 0x80000
	v_add_nc_u32_e32 v57, v57, v17
	v_and_b32_e32 v56, v58, v56
	v_bfe_u32 v60, v59, 20, 1
	v_cmp_eq_u32_e64 s10, v56, v61
	v_add_nc_u32_e32 v58, -1, v60
	v_cndmask_b32_e64 v56, 0, v58, s10
	v_lshrrev_b32_e32 v58, 23, v59
	s_mov_b32 s10, exec_lo
	v_add_nc_u32_e32 v56, v56, v59
	v_xor_b32_e32 v58, 1, v58
	v_and_b32_e32 v17, 0xfffff, v56
	v_add_nc_u32_e32 v56, v17, v59
                                        ; implicit-def: $vgpr17
	v_cmpx_ne_u32_e64 v57, v58
	s_xor_b32 s10, exec_lo, s10
; %bb.796:                              ;   in Loop: Header=BB2_625 Depth=2
	v_cmp_lt_u32_e32 vcc_lo, 0xffffff, v56
	v_sub_nc_u32_e32 v17, v57, v58
	v_cndmask_b32_e64 v57, 0, 1, vcc_lo
	v_add_co_ci_u32_e64 v17, null, 0, v17, vcc_lo
	v_lshrrev_b32_e32 v56, v57, v56
; %bb.797:                              ;   in Loop: Header=BB2_625 Depth=2
	s_andn2_saveexec_b32 s10, s10
; %bb.798:                              ;   in Loop: Header=BB2_625 Depth=2
	v_bfe_u32 v17, v56, 23, 1
; %bb.799:                              ;   in Loop: Header=BB2_625 Depth=2
	s_or_b32 exec_lo, exec_lo, s10
	v_lshrrev_b32_e32 v56, 20, v56
	v_min_i32_e32 v57, 15, v17
	v_cmp_gt_i32_e32 vcc_lo, 16, v17
	v_and_b32_sdwa v47, v47, v41 dst_sel:DWORD dst_unused:UNUSED_PAD src0_sel:BYTE_3 src1_sel:DWORD
	v_lshlrev_b32_e32 v57, 3, v57
	v_cndmask_b32_e32 v56, 7, v56, vcc_lo
	v_and_b32_e32 v57, 0xf8, v57
	v_and_b32_e32 v58, 7, v56
	v_or_b32_e32 v17, v17, v56
	v_or3_b32 v47, v47, v57, v58
	v_cmp_ne_u32_e32 vcc_lo, 0, v17
	v_lshlrev_b32_e32 v47, 8, v47
	v_cndmask_b32_e32 v17, 0, v47, vcc_lo
.LBB2_800:                              ;   in Loop: Header=BB2_625 Depth=2
	s_or_b32 exec_lo, exec_lo, s23
.LBB2_801:                              ;   in Loop: Header=BB2_625 Depth=2
	s_or_b32 exec_lo, exec_lo, s22
	v_cmp_gt_i16_sdwa s22, v19, v40 src0_sel:BYTE_0 src1_sel:DWORD
	s_mov_b32 s10, 0
	s_and_saveexec_b32 s23, s22
	s_xor_b32 s22, exec_lo, s23
	s_cbranch_execnz .LBB2_947
; %bb.802:                              ;   in Loop: Header=BB2_625 Depth=2
	s_or_saveexec_b32 s22, s22
	v_mov_b32_e32 v47, 0x7f800001
	s_xor_b32 exec_lo, exec_lo, s22
	s_cbranch_execnz .LBB2_950
.LBB2_803:                              ;   in Loop: Header=BB2_625 Depth=2
	s_or_b32 exec_lo, exec_lo, s22
	s_and_saveexec_b32 s22, s10
	s_cbranch_execz .LBB2_805
.LBB2_804:                              ;   in Loop: Header=BB2_625 Depth=2
	v_and_b32_e32 v47, 7, v19
	v_bfe_u32 v58, v19, 3, 4
	v_lshlrev_b32_e32 v59, 24, v19
	v_ffbh_u32_e32 v56, v47
	v_cmp_eq_u32_e32 vcc_lo, 0, v58
	v_min_u32_e32 v56, 32, v56
	v_subrev_nc_u32_e32 v57, 28, v56
	v_sub_nc_u32_e32 v56, 29, v56
	v_lshlrev_b32_e32 v57, v57, v19
	v_cndmask_b32_e32 v56, v58, v56, vcc_lo
	v_and_b32_e32 v57, 7, v57
	v_lshl_add_u32 v56, v56, 23, 0x3b800000
	v_cndmask_b32_e32 v47, v47, v57, vcc_lo
	v_and_b32_e32 v57, 0x80000000, v59
	v_lshlrev_b32_e32 v47, 20, v47
	v_or3_b32 v47, v57, v56, v47
.LBB2_805:                              ;   in Loop: Header=BB2_625 Depth=2
	s_or_b32 exec_lo, exec_lo, s22
	v_or_b32_e32 v97, v97, v54
	s_mov_b32 s10, 0
	v_cmp_gt_i16_sdwa s22, v97, v40 src0_sel:BYTE_0 src1_sel:DWORD
	s_and_saveexec_b32 s23, s22
	s_xor_b32 s22, exec_lo, s23
	s_cbranch_execnz .LBB2_951
; %bb.806:                              ;   in Loop: Header=BB2_625 Depth=2
	s_or_saveexec_b32 s22, s22
	v_mov_b32_e32 v54, 0x7f800001
	s_xor_b32 exec_lo, exec_lo, s22
	s_cbranch_execnz .LBB2_954
.LBB2_807:                              ;   in Loop: Header=BB2_625 Depth=2
	s_or_b32 exec_lo, exec_lo, s22
	s_and_saveexec_b32 s22, s10
	s_cbranch_execz .LBB2_809
.LBB2_808:                              ;   in Loop: Header=BB2_625 Depth=2
	v_and_b32_e32 v54, 7, v97
	v_bfe_u32 v58, v97, 3, 4
	v_lshlrev_b32_e32 v59, 24, v97
	v_ffbh_u32_e32 v56, v54
	v_cmp_eq_u32_e32 vcc_lo, 0, v58
	v_min_u32_e32 v56, 32, v56
	v_subrev_nc_u32_e32 v57, 28, v56
	v_sub_nc_u32_e32 v56, 29, v56
	v_lshlrev_b32_e32 v57, v57, v97
	v_cndmask_b32_e32 v56, v58, v56, vcc_lo
	v_and_b32_e32 v57, 7, v57
	v_lshl_add_u32 v56, v56, 23, 0x3b800000
	v_cndmask_b32_e32 v54, v54, v57, vcc_lo
	v_and_b32_e32 v57, 0x80000000, v59
	v_lshlrev_b32_e32 v54, 20, v54
	v_or3_b32 v54, v57, v56, v54
.LBB2_809:                              ;   in Loop: Header=BB2_625 Depth=2
	s_or_b32 exec_lo, exec_lo, s22
	v_add_f32_e32 v47, v47, v54
	v_and_b32_e32 v54, 0x7f800000, v47
	v_cmp_ne_u32_e32 vcc_lo, 0x7f800000, v54
	v_mov_b32_e32 v54, 0x80
	s_and_saveexec_b32 s22, vcc_lo
	s_cbranch_execz .LBB2_817
; %bb.810:                              ;   in Loop: Header=BB2_625 Depth=2
	v_mov_b32_e32 v54, 0
	s_mov_b32 s23, exec_lo
	v_cmpx_ne_u32_e32 0, v47
	s_cbranch_execz .LBB2_816
; %bb.811:                              ;   in Loop: Header=BB2_625 Depth=2
	v_bfe_u32 v54, v47, 23, 8
	v_and_b32_e32 v56, 0x7fffff, v47
	v_sub_nc_u32_e32 v57, 0x78, v54
	v_cmp_gt_u32_e32 vcc_lo, 0x79, v54
	v_or_b32_e32 v58, 0x800000, v56
	v_cndmask_b32_e32 v57, 0, v57, vcc_lo
	v_cmp_eq_u32_e32 vcc_lo, 0, v54
	v_add_nc_u32_e32 v54, 0xffffff89, v54
	v_cndmask_b32_e64 v57, v57, 0x77, vcc_lo
	v_cndmask_b32_e32 v56, v58, v56, vcc_lo
	v_cndmask_b32_e64 v54, v54, 0xffffff8a, vcc_lo
	v_lshl_add_u32 v58, 0x100000, v57, -1
	v_lshrrev_b32_e32 v59, v57, v56
	v_lshlrev_b32_e64 v61, v57, 0x80000
	v_add_nc_u32_e32 v57, v57, v54
	v_and_b32_e32 v56, v58, v56
	v_bfe_u32 v60, v59, 20, 1
	v_cmp_eq_u32_e64 s10, v56, v61
	v_add_nc_u32_e32 v58, -1, v60
	v_cndmask_b32_e64 v56, 0, v58, s10
	v_lshrrev_b32_e32 v58, 23, v59
	s_mov_b32 s10, exec_lo
	v_add_nc_u32_e32 v56, v56, v59
	v_xor_b32_e32 v58, 1, v58
	v_and_b32_e32 v54, 0xfffff, v56
	v_add_nc_u32_e32 v56, v54, v59
                                        ; implicit-def: $vgpr54
	v_cmpx_ne_u32_e64 v57, v58
	s_xor_b32 s10, exec_lo, s10
; %bb.812:                              ;   in Loop: Header=BB2_625 Depth=2
	v_cmp_lt_u32_e32 vcc_lo, 0xffffff, v56
	v_sub_nc_u32_e32 v54, v57, v58
	v_cndmask_b32_e64 v57, 0, 1, vcc_lo
	v_add_co_ci_u32_e64 v54, null, 0, v54, vcc_lo
	v_lshrrev_b32_e32 v56, v57, v56
; %bb.813:                              ;   in Loop: Header=BB2_625 Depth=2
	s_andn2_saveexec_b32 s10, s10
; %bb.814:                              ;   in Loop: Header=BB2_625 Depth=2
	v_bfe_u32 v54, v56, 23, 1
; %bb.815:                              ;   in Loop: Header=BB2_625 Depth=2
	s_or_b32 exec_lo, exec_lo, s10
	v_lshrrev_b32_e32 v56, 20, v56
	v_min_i32_e32 v57, 15, v54
	v_cmp_gt_i32_e32 vcc_lo, 16, v54
	v_and_b32_sdwa v47, v47, v41 dst_sel:DWORD dst_unused:UNUSED_PAD src0_sel:BYTE_3 src1_sel:DWORD
	v_lshlrev_b32_e32 v57, 3, v57
	v_cndmask_b32_e32 v56, 7, v56, vcc_lo
	v_and_b32_e32 v57, 0xf8, v57
	v_and_b32_e32 v58, 7, v56
	v_or_b32_e32 v54, v54, v56
	v_or3_b32 v47, v57, v47, v58
	v_cmp_ne_u32_e32 vcc_lo, 0, v54
	v_cndmask_b32_e32 v54, 0, v47, vcc_lo
.LBB2_816:                              ;   in Loop: Header=BB2_625 Depth=2
	s_or_b32 exec_lo, exec_lo, s23
.LBB2_817:                              ;   in Loop: Header=BB2_625 Depth=2
	s_or_b32 exec_lo, exec_lo, s22
	v_cmp_gt_i16_sdwa s22, v19, v40 src0_sel:BYTE_1 src1_sel:DWORD
	s_mov_b32 s10, 0
	s_and_saveexec_b32 s23, s22
	s_xor_b32 s22, exec_lo, s23
	s_cbranch_execnz .LBB2_955
; %bb.818:                              ;   in Loop: Header=BB2_625 Depth=2
	s_or_saveexec_b32 s22, s22
	v_mov_b32_e32 v47, 0x7f800001
	s_xor_b32 exec_lo, exec_lo, s22
	s_cbranch_execnz .LBB2_958
.LBB2_819:                              ;   in Loop: Header=BB2_625 Depth=2
	s_or_b32 exec_lo, exec_lo, s22
	s_and_saveexec_b32 s22, s10
	s_cbranch_execz .LBB2_821
.LBB2_820:                              ;   in Loop: Header=BB2_625 Depth=2
	v_and_b32_sdwa v47, v42, v19 dst_sel:DWORD dst_unused:UNUSED_PAD src0_sel:DWORD src1_sel:BYTE_1
	v_and_b32_e32 v56, 7, v47
	v_bfe_u32 v59, v47, 3, 4
	v_ffbh_u32_e32 v57, v56
	v_cmp_eq_u32_e32 vcc_lo, 0, v59
	v_min_u32_e32 v57, 32, v57
	v_subrev_nc_u32_e32 v58, 28, v57
	v_sub_nc_u32_e32 v57, 29, v57
	v_lshlrev_b32_e32 v47, v58, v47
	v_lshlrev_b32_sdwa v58, v43, v19 dst_sel:DWORD dst_unused:UNUSED_PAD src0_sel:DWORD src1_sel:BYTE_1
	v_cndmask_b32_e32 v57, v59, v57, vcc_lo
	v_and_b32_e32 v47, 7, v47
	v_lshl_add_u32 v57, v57, 23, 0x3b800000
	v_cndmask_b32_e32 v47, v56, v47, vcc_lo
	v_and_b32_e32 v56, 0x80000000, v58
	v_lshlrev_b32_e32 v47, 20, v47
	v_or3_b32 v47, v56, v57, v47
.LBB2_821:                              ;   in Loop: Header=BB2_625 Depth=2
	s_or_b32 exec_lo, exec_lo, s22
	v_cmp_gt_i16_sdwa s22, v97, v40 src0_sel:BYTE_1 src1_sel:DWORD
	s_mov_b32 s10, 0
	s_and_saveexec_b32 s23, s22
	s_xor_b32 s22, exec_lo, s23
	s_cbranch_execnz .LBB2_959
; %bb.822:                              ;   in Loop: Header=BB2_625 Depth=2
	s_or_saveexec_b32 s22, s22
	v_mov_b32_e32 v56, 0x7f800001
	s_xor_b32 exec_lo, exec_lo, s22
	s_cbranch_execnz .LBB2_962
.LBB2_823:                              ;   in Loop: Header=BB2_625 Depth=2
	s_or_b32 exec_lo, exec_lo, s22
	s_and_saveexec_b32 s22, s10
	s_cbranch_execz .LBB2_825
.LBB2_824:                              ;   in Loop: Header=BB2_625 Depth=2
	v_and_b32_sdwa v56, v42, v97 dst_sel:DWORD dst_unused:UNUSED_PAD src0_sel:DWORD src1_sel:BYTE_1
	v_and_b32_e32 v57, 7, v56
	v_bfe_u32 v60, v56, 3, 4
	v_ffbh_u32_e32 v58, v57
	v_cmp_eq_u32_e32 vcc_lo, 0, v60
	v_min_u32_e32 v58, 32, v58
	v_subrev_nc_u32_e32 v59, 28, v58
	v_sub_nc_u32_e32 v58, 29, v58
	v_lshlrev_b32_e32 v56, v59, v56
	v_lshlrev_b32_sdwa v59, v43, v97 dst_sel:DWORD dst_unused:UNUSED_PAD src0_sel:DWORD src1_sel:BYTE_1
	v_cndmask_b32_e32 v58, v60, v58, vcc_lo
	v_and_b32_e32 v56, 7, v56
	v_lshl_add_u32 v58, v58, 23, 0x3b800000
	v_cndmask_b32_e32 v56, v57, v56, vcc_lo
	v_and_b32_e32 v57, 0x80000000, v59
	v_lshlrev_b32_e32 v56, 20, v56
	v_or3_b32 v56, v57, v58, v56
.LBB2_825:                              ;   in Loop: Header=BB2_625 Depth=2
	s_or_b32 exec_lo, exec_lo, s22
	v_add_f32_e32 v56, v47, v56
	v_and_b32_e32 v47, 0x7f800000, v56
	v_cmp_ne_u32_e32 vcc_lo, 0x7f800000, v47
	v_mov_b32_e32 v47, 0x8000
	s_and_saveexec_b32 s22, vcc_lo
	s_cbranch_execz .LBB2_833
; %bb.826:                              ;   in Loop: Header=BB2_625 Depth=2
	v_mov_b32_e32 v47, 0
	s_mov_b32 s23, exec_lo
	v_cmpx_ne_u32_e32 0, v56
	s_cbranch_execz .LBB2_832
; %bb.827:                              ;   in Loop: Header=BB2_625 Depth=2
	v_bfe_u32 v47, v56, 23, 8
	v_and_b32_e32 v57, 0x7fffff, v56
	v_sub_nc_u32_e32 v58, 0x78, v47
	v_cmp_gt_u32_e32 vcc_lo, 0x79, v47
	v_or_b32_e32 v59, 0x800000, v57
	v_cndmask_b32_e32 v58, 0, v58, vcc_lo
	v_cmp_eq_u32_e32 vcc_lo, 0, v47
	v_add_nc_u32_e32 v47, 0xffffff89, v47
	v_cndmask_b32_e64 v58, v58, 0x77, vcc_lo
	v_cndmask_b32_e32 v57, v59, v57, vcc_lo
	v_cndmask_b32_e64 v47, v47, 0xffffff8a, vcc_lo
	v_lshl_add_u32 v59, 0x100000, v58, -1
	v_lshrrev_b32_e32 v60, v58, v57
	v_lshlrev_b32_e64 v62, v58, 0x80000
	v_add_nc_u32_e32 v58, v58, v47
	v_and_b32_e32 v57, v59, v57
	v_bfe_u32 v61, v60, 20, 1
	v_cmp_eq_u32_e64 s10, v57, v62
	v_add_nc_u32_e32 v59, -1, v61
	v_cndmask_b32_e64 v57, 0, v59, s10
	v_lshrrev_b32_e32 v59, 23, v60
	s_mov_b32 s10, exec_lo
	v_add_nc_u32_e32 v57, v57, v60
	v_xor_b32_e32 v59, 1, v59
	v_and_b32_e32 v47, 0xfffff, v57
	v_add_nc_u32_e32 v57, v47, v60
                                        ; implicit-def: $vgpr47
	v_cmpx_ne_u32_e64 v58, v59
	s_xor_b32 s10, exec_lo, s10
; %bb.828:                              ;   in Loop: Header=BB2_625 Depth=2
	v_cmp_lt_u32_e32 vcc_lo, 0xffffff, v57
	v_sub_nc_u32_e32 v47, v58, v59
	v_cndmask_b32_e64 v58, 0, 1, vcc_lo
	v_add_co_ci_u32_e64 v47, null, 0, v47, vcc_lo
	v_lshrrev_b32_e32 v57, v58, v57
; %bb.829:                              ;   in Loop: Header=BB2_625 Depth=2
	s_andn2_saveexec_b32 s10, s10
; %bb.830:                              ;   in Loop: Header=BB2_625 Depth=2
	v_bfe_u32 v47, v57, 23, 1
; %bb.831:                              ;   in Loop: Header=BB2_625 Depth=2
	s_or_b32 exec_lo, exec_lo, s10
	v_lshrrev_b32_e32 v57, 20, v57
	v_min_i32_e32 v58, 15, v47
	v_cmp_gt_i32_e32 vcc_lo, 16, v47
	v_and_b32_sdwa v56, v56, v41 dst_sel:DWORD dst_unused:UNUSED_PAD src0_sel:BYTE_3 src1_sel:DWORD
	v_lshlrev_b32_e32 v58, 3, v58
	v_cndmask_b32_e32 v57, 7, v57, vcc_lo
	v_and_b32_e32 v58, 0xf8, v58
	v_and_b32_e32 v59, 7, v57
	v_or_b32_e32 v47, v47, v57
	v_or3_b32 v56, v56, v58, v59
	v_cmp_ne_u32_e32 vcc_lo, 0, v47
	v_lshlrev_b32_e32 v56, 8, v56
	v_cndmask_b32_e32 v47, 0, v56, vcc_lo
.LBB2_832:                              ;   in Loop: Header=BB2_625 Depth=2
	s_or_b32 exec_lo, exec_lo, s23
.LBB2_833:                              ;   in Loop: Header=BB2_625 Depth=2
	s_or_b32 exec_lo, exec_lo, s22
	v_and_b32_sdwa v57, v19, v44 dst_sel:DWORD dst_unused:UNUSED_PAD src0_sel:WORD_1 src1_sel:DWORD
	s_mov_b32 s10, 0
	s_mov_b32 s22, exec_lo
	v_cmpx_lt_i16_e32 0x7f, v57
	s_xor_b32 s22, exec_lo, s22
	s_cbranch_execnz .LBB2_963
; %bb.834:                              ;   in Loop: Header=BB2_625 Depth=2
	s_or_saveexec_b32 s22, s22
	v_mov_b32_e32 v56, 0x7f800001
	s_xor_b32 exec_lo, exec_lo, s22
	s_cbranch_execnz .LBB2_966
.LBB2_835:                              ;   in Loop: Header=BB2_625 Depth=2
	s_or_b32 exec_lo, exec_lo, s22
	s_and_saveexec_b32 s22, s10
	s_cbranch_execz .LBB2_837
.LBB2_836:                              ;   in Loop: Header=BB2_625 Depth=2
	v_bfe_u32 v56, v19, 16, 3
	v_bfe_u32 v59, v19, 19, 4
	v_lshlrev_b32_e32 v60, 8, v19
	v_ffbh_u32_e32 v57, v56
	v_cmp_eq_u32_e32 vcc_lo, 0, v59
	v_min_u32_e32 v57, 32, v57
	v_subrev_nc_u32_e32 v58, 28, v57
	v_sub_nc_u32_e32 v57, 29, v57
	v_lshlrev_b32_sdwa v58, v58, v19 dst_sel:DWORD dst_unused:UNUSED_PAD src0_sel:DWORD src1_sel:WORD_1
	v_cndmask_b32_e32 v57, v59, v57, vcc_lo
	v_and_b32_e32 v58, 7, v58
	v_lshl_add_u32 v57, v57, 23, 0x3b800000
	v_cndmask_b32_e32 v56, v56, v58, vcc_lo
	v_and_b32_e32 v58, 0x80000000, v60
	v_lshlrev_b32_e32 v56, 20, v56
	v_or3_b32 v56, v58, v57, v56
.LBB2_837:                              ;   in Loop: Header=BB2_625 Depth=2
	s_or_b32 exec_lo, exec_lo, s22
	v_or_b32_e32 v18, v81, v18
	s_mov_b32 s10, 0
	v_cmp_gt_i16_sdwa s22, v18, v40 src0_sel:BYTE_0 src1_sel:DWORD
	s_and_saveexec_b32 s23, s22
	s_xor_b32 s22, exec_lo, s23
	s_cbranch_execnz .LBB2_967
; %bb.838:                              ;   in Loop: Header=BB2_625 Depth=2
	s_or_saveexec_b32 s22, s22
	v_mov_b32_e32 v57, 0x7f800001
	s_xor_b32 exec_lo, exec_lo, s22
	s_cbranch_execnz .LBB2_970
.LBB2_839:                              ;   in Loop: Header=BB2_625 Depth=2
	s_or_b32 exec_lo, exec_lo, s22
	v_lshl_or_b32 v81, v18, 16, v97
	s_and_saveexec_b32 s22, s10
	s_cbranch_execz .LBB2_841
.LBB2_840:                              ;   in Loop: Header=BB2_625 Depth=2
	v_bfe_u32 v18, v81, 16, 3
	v_bfe_u32 v58, v81, 19, 4
	v_lshlrev_b32_e32 v59, 8, v81
	v_ffbh_u32_e32 v97, v18
	v_cmp_eq_u32_e32 vcc_lo, 0, v58
	v_min_u32_e32 v97, 32, v97
	v_subrev_nc_u32_e32 v57, 28, v97
	v_sub_nc_u32_e32 v97, 29, v97
	v_lshlrev_b32_sdwa v57, v57, v81 dst_sel:DWORD dst_unused:UNUSED_PAD src0_sel:DWORD src1_sel:WORD_1
	v_cndmask_b32_e32 v97, v58, v97, vcc_lo
	v_and_b32_e32 v57, 7, v57
	v_lshl_add_u32 v97, v97, 23, 0x3b800000
	v_cndmask_b32_e32 v18, v18, v57, vcc_lo
	v_and_b32_e32 v57, 0x80000000, v59
	v_lshlrev_b32_e32 v18, 20, v18
	v_or3_b32 v57, v57, v97, v18
.LBB2_841:                              ;   in Loop: Header=BB2_625 Depth=2
	s_or_b32 exec_lo, exec_lo, s22
	v_add_f32_e32 v97, v56, v57
	v_and_b32_e32 v18, 0x7f800000, v97
	v_cmp_ne_u32_e32 vcc_lo, 0x7f800000, v18
	v_mov_b32_e32 v18, 0x80
	s_and_saveexec_b32 s22, vcc_lo
	s_cbranch_execz .LBB2_849
; %bb.842:                              ;   in Loop: Header=BB2_625 Depth=2
	v_mov_b32_e32 v18, 0
	s_mov_b32 s23, exec_lo
	v_cmpx_ne_u32_e32 0, v97
	s_cbranch_execz .LBB2_848
; %bb.843:                              ;   in Loop: Header=BB2_625 Depth=2
	v_bfe_u32 v18, v97, 23, 8
	v_and_b32_e32 v56, 0x7fffff, v97
	v_sub_nc_u32_e32 v57, 0x78, v18
	v_cmp_gt_u32_e32 vcc_lo, 0x79, v18
	v_or_b32_e32 v58, 0x800000, v56
	v_cndmask_b32_e32 v57, 0, v57, vcc_lo
	v_cmp_eq_u32_e32 vcc_lo, 0, v18
	v_add_nc_u32_e32 v18, 0xffffff89, v18
	v_cndmask_b32_e64 v57, v57, 0x77, vcc_lo
	v_cndmask_b32_e32 v56, v58, v56, vcc_lo
	v_cndmask_b32_e64 v18, v18, 0xffffff8a, vcc_lo
	v_lshl_add_u32 v58, 0x100000, v57, -1
	v_lshrrev_b32_e32 v59, v57, v56
	v_lshlrev_b32_e64 v61, v57, 0x80000
	v_add_nc_u32_e32 v57, v57, v18
	v_and_b32_e32 v56, v58, v56
	v_bfe_u32 v60, v59, 20, 1
	v_cmp_eq_u32_e64 s10, v56, v61
	v_add_nc_u32_e32 v58, -1, v60
	v_cndmask_b32_e64 v56, 0, v58, s10
	v_lshrrev_b32_e32 v58, 23, v59
	s_mov_b32 s10, exec_lo
	v_add_nc_u32_e32 v56, v56, v59
	v_xor_b32_e32 v58, 1, v58
	v_and_b32_e32 v18, 0xfffff, v56
	v_add_nc_u32_e32 v56, v18, v59
                                        ; implicit-def: $vgpr18
	v_cmpx_ne_u32_e64 v57, v58
	s_xor_b32 s10, exec_lo, s10
; %bb.844:                              ;   in Loop: Header=BB2_625 Depth=2
	v_cmp_lt_u32_e32 vcc_lo, 0xffffff, v56
	v_sub_nc_u32_e32 v18, v57, v58
	v_cndmask_b32_e64 v57, 0, 1, vcc_lo
	v_add_co_ci_u32_e64 v18, null, 0, v18, vcc_lo
	v_lshrrev_b32_e32 v56, v57, v56
; %bb.845:                              ;   in Loop: Header=BB2_625 Depth=2
	s_andn2_saveexec_b32 s10, s10
; %bb.846:                              ;   in Loop: Header=BB2_625 Depth=2
	v_bfe_u32 v18, v56, 23, 1
; %bb.847:                              ;   in Loop: Header=BB2_625 Depth=2
	s_or_b32 exec_lo, exec_lo, s10
	v_lshrrev_b32_e32 v56, 20, v56
	v_min_i32_e32 v57, 15, v18
	v_cmp_gt_i32_e32 vcc_lo, 16, v18
	v_and_b32_sdwa v97, v97, v41 dst_sel:DWORD dst_unused:UNUSED_PAD src0_sel:BYTE_3 src1_sel:DWORD
	v_lshlrev_b32_e32 v57, 3, v57
	v_cndmask_b32_e32 v56, 7, v56, vcc_lo
	v_and_b32_e32 v57, 0xf8, v57
	v_and_b32_e32 v58, 7, v56
	v_or_b32_e32 v18, v18, v56
	v_or3_b32 v97, v57, v97, v58
	v_cmp_ne_u32_e32 vcc_lo, 0, v18
	v_cndmask_b32_e32 v18, 0, v97, vcc_lo
.LBB2_848:                              ;   in Loop: Header=BB2_625 Depth=2
	s_or_b32 exec_lo, exec_lo, s23
.LBB2_849:                              ;   in Loop: Header=BB2_625 Depth=2
	s_or_b32 exec_lo, exec_lo, s22
	v_cmp_gt_i16_sdwa s22, v19, v40 src0_sel:BYTE_3 src1_sel:DWORD
	s_mov_b32 s10, 0
	s_and_saveexec_b32 s23, s22
	s_xor_b32 s22, exec_lo, s23
	s_cbranch_execnz .LBB2_971
; %bb.850:                              ;   in Loop: Header=BB2_625 Depth=2
	s_or_saveexec_b32 s22, s22
	v_mov_b32_e32 v97, 0x7f800001
	s_xor_b32 exec_lo, exec_lo, s22
	s_cbranch_execnz .LBB2_974
.LBB2_851:                              ;   in Loop: Header=BB2_625 Depth=2
	s_or_b32 exec_lo, exec_lo, s22
	s_and_saveexec_b32 s22, s10
	s_cbranch_execz .LBB2_853
.LBB2_852:                              ;   in Loop: Header=BB2_625 Depth=2
	v_bfe_u32 v97, v19, 24, 3
	v_bfe_u32 v58, v19, 27, 4
	v_ffbh_u32_e32 v56, v97
	v_cmp_eq_u32_e32 vcc_lo, 0, v58
	v_min_u32_e32 v56, 32, v56
	v_subrev_nc_u32_e32 v57, 28, v56
	v_sub_nc_u32_e32 v56, 29, v56
	v_lshlrev_b32_sdwa v57, v57, v19 dst_sel:DWORD dst_unused:UNUSED_PAD src0_sel:DWORD src1_sel:BYTE_3
	v_cndmask_b32_e32 v56, v58, v56, vcc_lo
	v_and_b32_e32 v19, 0x80000000, v19
	v_and_b32_e32 v57, 7, v57
	v_lshl_add_u32 v56, v56, 23, 0x3b800000
	v_cndmask_b32_e32 v97, v97, v57, vcc_lo
	v_lshlrev_b32_e32 v97, 20, v97
	v_or3_b32 v97, v19, v56, v97
.LBB2_853:                              ;   in Loop: Header=BB2_625 Depth=2
	s_or_b32 exec_lo, exec_lo, s22
	v_cmp_gt_i16_sdwa s22, v81, v40 src0_sel:BYTE_3 src1_sel:DWORD
	s_mov_b32 s10, 0
	s_and_saveexec_b32 s23, s22
	s_xor_b32 s22, exec_lo, s23
	s_cbranch_execnz .LBB2_975
; %bb.854:                              ;   in Loop: Header=BB2_625 Depth=2
	s_or_saveexec_b32 s22, s22
	v_mov_b32_e32 v19, 0x7f800001
	s_xor_b32 exec_lo, exec_lo, s22
	s_cbranch_execnz .LBB2_978
.LBB2_855:                              ;   in Loop: Header=BB2_625 Depth=2
	s_or_b32 exec_lo, exec_lo, s22
	s_and_saveexec_b32 s22, s10
	s_cbranch_execz .LBB2_857
.LBB2_856:                              ;   in Loop: Header=BB2_625 Depth=2
	v_bfe_u32 v19, v81, 24, 3
	v_bfe_u32 v58, v81, 27, 4
	v_ffbh_u32_e32 v56, v19
	v_cmp_eq_u32_e32 vcc_lo, 0, v58
	v_min_u32_e32 v56, 32, v56
	v_subrev_nc_u32_e32 v57, 28, v56
	v_sub_nc_u32_e32 v56, 29, v56
	v_lshlrev_b32_sdwa v57, v57, v81 dst_sel:DWORD dst_unused:UNUSED_PAD src0_sel:DWORD src1_sel:BYTE_3
	v_cndmask_b32_e32 v56, v58, v56, vcc_lo
	v_and_b32_e32 v81, 0x80000000, v81
	v_and_b32_e32 v57, 7, v57
	v_lshl_add_u32 v56, v56, 23, 0x3b800000
	v_cndmask_b32_e32 v19, v19, v57, vcc_lo
	v_lshlrev_b32_e32 v19, 20, v19
	v_or3_b32 v19, v81, v56, v19
.LBB2_857:                              ;   in Loop: Header=BB2_625 Depth=2
	s_or_b32 exec_lo, exec_lo, s22
	v_add_f32_e32 v19, v97, v19
	v_and_b32_e32 v81, 0x7f800000, v19
	v_cmp_ne_u32_e32 vcc_lo, 0x7f800000, v81
	v_mov_b32_e32 v81, 0x8000
	s_and_saveexec_b32 s22, vcc_lo
	s_cbranch_execz .LBB2_865
; %bb.858:                              ;   in Loop: Header=BB2_625 Depth=2
	v_mov_b32_e32 v81, 0
	s_mov_b32 s23, exec_lo
	v_cmpx_ne_u32_e32 0, v19
	s_cbranch_execz .LBB2_864
; %bb.859:                              ;   in Loop: Header=BB2_625 Depth=2
	v_bfe_u32 v81, v19, 23, 8
	v_and_b32_e32 v97, 0x7fffff, v19
	v_sub_nc_u32_e32 v56, 0x78, v81
	v_cmp_gt_u32_e32 vcc_lo, 0x79, v81
	v_or_b32_e32 v57, 0x800000, v97
	v_cndmask_b32_e32 v56, 0, v56, vcc_lo
	v_cmp_eq_u32_e32 vcc_lo, 0, v81
	v_add_nc_u32_e32 v81, 0xffffff89, v81
	v_cndmask_b32_e64 v56, v56, 0x77, vcc_lo
	v_cndmask_b32_e32 v97, v57, v97, vcc_lo
	v_cndmask_b32_e64 v81, v81, 0xffffff8a, vcc_lo
	v_lshl_add_u32 v57, 0x100000, v56, -1
	v_lshrrev_b32_e32 v58, v56, v97
	v_lshlrev_b32_e64 v60, v56, 0x80000
	v_add_nc_u32_e32 v56, v56, v81
	v_and_b32_e32 v97, v57, v97
	v_bfe_u32 v59, v58, 20, 1
	v_cmp_eq_u32_e64 s10, v97, v60
	v_add_nc_u32_e32 v57, -1, v59
	v_cndmask_b32_e64 v97, 0, v57, s10
	v_lshrrev_b32_e32 v57, 23, v58
	s_mov_b32 s10, exec_lo
	v_add_nc_u32_e32 v97, v97, v58
	v_xor_b32_e32 v57, 1, v57
	v_and_b32_e32 v81, 0xfffff, v97
	v_add_nc_u32_e32 v97, v81, v58
                                        ; implicit-def: $vgpr81
	v_cmpx_ne_u32_e64 v56, v57
	s_xor_b32 s10, exec_lo, s10
; %bb.860:                              ;   in Loop: Header=BB2_625 Depth=2
	v_cmp_lt_u32_e32 vcc_lo, 0xffffff, v97
	v_sub_nc_u32_e32 v81, v56, v57
	v_cndmask_b32_e64 v56, 0, 1, vcc_lo
	v_add_co_ci_u32_e64 v81, null, 0, v81, vcc_lo
	v_lshrrev_b32_e32 v97, v56, v97
; %bb.861:                              ;   in Loop: Header=BB2_625 Depth=2
	s_andn2_saveexec_b32 s10, s10
; %bb.862:                              ;   in Loop: Header=BB2_625 Depth=2
	v_bfe_u32 v81, v97, 23, 1
; %bb.863:                              ;   in Loop: Header=BB2_625 Depth=2
	s_or_b32 exec_lo, exec_lo, s10
	v_lshrrev_b32_e32 v97, 20, v97
	v_min_i32_e32 v56, 15, v81
	v_cmp_gt_i32_e32 vcc_lo, 16, v81
	v_and_b32_sdwa v19, v19, v41 dst_sel:DWORD dst_unused:UNUSED_PAD src0_sel:BYTE_3 src1_sel:DWORD
	v_lshlrev_b32_e32 v56, 3, v56
	v_cndmask_b32_e32 v97, 7, v97, vcc_lo
	v_and_b32_e32 v56, 0xf8, v56
	v_and_b32_e32 v57, 7, v97
	v_or_b32_e32 v81, v81, v97
	v_or3_b32 v19, v19, v56, v57
	v_cmp_ne_u32_e32 vcc_lo, 0, v81
	v_lshlrev_b32_e32 v19, 8, v19
	v_cndmask_b32_e32 v81, 0, v19, vcc_lo
.LBB2_864:                              ;   in Loop: Header=BB2_625 Depth=2
	s_or_b32 exec_lo, exec_lo, s23
.LBB2_865:                              ;   in Loop: Header=BB2_625 Depth=2
	s_or_b32 exec_lo, exec_lo, s22
	v_or_b32_e32 v20, v82, v20
	v_or_b32_e32 v17, v17, v96
	;; [unrolled: 1-line block ×4, first 2 shown]
	v_cmp_lt_u32_e32 vcc_lo, 7, v46
	s_mov_b32 s10, -1
	v_lshl_or_b32 v17, v17, 16, v20
	v_lshl_or_b32 v18, v18, 16, v19
	s_cmp_lg_u32 vcc_lo, exec_lo
	s_cbranch_scc0 .LBB2_881
; %bb.866:                              ;   in Loop: Header=BB2_625 Depth=2
	s_mov_b32 s22, exec_lo
	flat_store_byte v[70:71], v20
	v_cmpx_ne_u32_e32 1, v46
	s_cbranch_execz .LBB2_868
; %bb.867:                              ;   in Loop: Header=BB2_625 Depth=2
	v_lshrrev_b32_e32 v20, 8, v20
	flat_store_byte v[70:71], v20 offset:1
.LBB2_868:                              ;   in Loop: Header=BB2_625 Depth=2
	s_or_b32 exec_lo, exec_lo, s22
	s_mov_b32 s22, exec_lo
	v_cmpx_lt_u32_e32 2, v46
	s_cbranch_execz .LBB2_870
; %bb.869:                              ;   in Loop: Header=BB2_625 Depth=2
	flat_store_byte_d16_hi v[70:71], v17 offset:2
.LBB2_870:                              ;   in Loop: Header=BB2_625 Depth=2
	s_or_b32 exec_lo, exec_lo, s22
	s_mov_b32 s22, exec_lo
	v_cmpx_lt_u32_e32 3, v46
	s_cbranch_execz .LBB2_872
; %bb.871:                              ;   in Loop: Header=BB2_625 Depth=2
	v_lshrrev_b32_e32 v20, 24, v17
	flat_store_byte v[70:71], v20 offset:3
.LBB2_872:                              ;   in Loop: Header=BB2_625 Depth=2
	s_or_b32 exec_lo, exec_lo, s22
	s_mov_b32 s22, exec_lo
	v_cmpx_lt_u32_e32 4, v46
	s_cbranch_execz .LBB2_874
; %bb.873:                              ;   in Loop: Header=BB2_625 Depth=2
	flat_store_byte v[70:71], v19 offset:4
.LBB2_874:                              ;   in Loop: Header=BB2_625 Depth=2
	s_or_b32 exec_lo, exec_lo, s22
	s_mov_b32 s22, exec_lo
	v_cmpx_lt_u32_e32 5, v46
	s_cbranch_execz .LBB2_876
; %bb.875:                              ;   in Loop: Header=BB2_625 Depth=2
	v_lshrrev_b32_e32 v19, 8, v19
	flat_store_byte v[70:71], v19 offset:5
.LBB2_876:                              ;   in Loop: Header=BB2_625 Depth=2
	s_or_b32 exec_lo, exec_lo, s22
	s_mov_b32 s22, exec_lo
	v_cmpx_lt_u32_e32 6, v46
	s_cbranch_execz .LBB2_878
; %bb.877:                              ;   in Loop: Header=BB2_625 Depth=2
	flat_store_byte_d16_hi v[70:71], v18 offset:6
.LBB2_878:                              ;   in Loop: Header=BB2_625 Depth=2
	s_or_b32 exec_lo, exec_lo, s22
	s_and_saveexec_b32 s10, vcc_lo
	s_cbranch_execz .LBB2_880
; %bb.879:                              ;   in Loop: Header=BB2_625 Depth=2
	v_lshrrev_b32_e32 v19, 24, v18
	flat_store_byte v[70:71], v19 offset:7
.LBB2_880:                              ;   in Loop: Header=BB2_625 Depth=2
	s_or_b32 exec_lo, exec_lo, s10
	s_mov_b32 s10, 0
.LBB2_881:                              ;   in Loop: Header=BB2_625 Depth=2
	s_and_b32 vcc_lo, exec_lo, s10
	s_cbranch_vccz .LBB2_624
; %bb.882:                              ;   in Loop: Header=BB2_625 Depth=2
	global_store_dwordx2 v[70:71], v[17:18], off
	s_branch .LBB2_624
.LBB2_883:                              ;   in Loop: Header=BB2_625 Depth=2
	v_cmp_eq_u16_sdwa s24, v54, v41 src0_sel:BYTE_0 src1_sel:DWORD
	s_mov_b32 s10, -1
	s_and_saveexec_b32 s23, s24
; %bb.884:                              ;   in Loop: Header=BB2_625 Depth=2
	s_xor_b32 s10, exec_lo, -1
; %bb.885:                              ;   in Loop: Header=BB2_625 Depth=2
	s_or_b32 exec_lo, exec_lo, s23
	s_and_b32 s10, s10, exec_lo
	s_or_saveexec_b32 s22, s22
	v_mov_b32_e32 v20, 0x7f800001
	s_xor_b32 exec_lo, exec_lo, s22
	s_cbranch_execz .LBB2_643
.LBB2_886:                              ;   in Loop: Header=BB2_625 Depth=2
	v_cmp_ne_u16_sdwa s23, v54, v55 src0_sel:BYTE_0 src1_sel:DWORD
	v_mov_b32_e32 v20, 0
	s_andn2_b32 s10, s10, exec_lo
	s_and_b32 s23, s23, exec_lo
	s_or_b32 s10, s10, s23
	s_or_b32 exec_lo, exec_lo, s22
	s_and_saveexec_b32 s22, s10
	s_cbranch_execnz .LBB2_644
	s_branch .LBB2_645
.LBB2_887:                              ;   in Loop: Header=BB2_625 Depth=2
	v_cmp_eq_u16_sdwa s24, v54, v41 src0_sel:BYTE_1 src1_sel:DWORD
	s_mov_b32 s10, -1
	s_and_saveexec_b32 s23, s24
; %bb.888:                              ;   in Loop: Header=BB2_625 Depth=2
	s_xor_b32 s10, exec_lo, -1
; %bb.889:                              ;   in Loop: Header=BB2_625 Depth=2
	s_or_b32 exec_lo, exec_lo, s23
	s_and_b32 s10, s10, exec_lo
	s_or_saveexec_b32 s22, s22
	v_mov_b32_e32 v81, 0x7f800001
	s_xor_b32 exec_lo, exec_lo, s22
	s_cbranch_execz .LBB2_655
.LBB2_890:                              ;   in Loop: Header=BB2_625 Depth=2
	v_cmp_ne_u16_sdwa s23, v54, v55 src0_sel:BYTE_1 src1_sel:DWORD
	v_mov_b32_e32 v81, 0
	s_andn2_b32 s10, s10, exec_lo
	s_and_b32 s23, s23, exec_lo
	s_or_b32 s10, s10, s23
	s_or_b32 exec_lo, exec_lo, s22
	s_and_saveexec_b32 s22, s10
	s_cbranch_execnz .LBB2_656
	s_branch .LBB2_657
.LBB2_891:                              ;   in Loop: Header=BB2_625 Depth=2
	s_mov_b32 s10, -1
	s_mov_b32 s23, exec_lo
	v_cmpx_eq_u16_e32 0x80, v96
; %bb.892:                              ;   in Loop: Header=BB2_625 Depth=2
	s_xor_b32 s10, exec_lo, -1
; %bb.893:                              ;   in Loop: Header=BB2_625 Depth=2
	s_or_b32 exec_lo, exec_lo, s23
	s_and_b32 s10, s10, exec_lo
                                        ; implicit-def: $vgpr96
	s_or_saveexec_b32 s22, s22
	v_mov_b32_e32 v81, 0x7f800001
	s_xor_b32 exec_lo, exec_lo, s22
	s_cbranch_execz .LBB2_667
.LBB2_894:                              ;   in Loop: Header=BB2_625 Depth=2
	v_cmp_ne_u16_e32 vcc_lo, 0, v96
	v_mov_b32_e32 v81, 0
	s_andn2_b32 s10, s10, exec_lo
	s_and_b32 s23, vcc_lo, exec_lo
	s_or_b32 s10, s10, s23
	s_or_b32 exec_lo, exec_lo, s22
	s_and_saveexec_b32 s22, s10
	s_cbranch_execnz .LBB2_668
	s_branch .LBB2_669
.LBB2_895:                              ;   in Loop: Header=BB2_625 Depth=2
	v_cmp_eq_u16_sdwa s24, v54, v41 src0_sel:BYTE_3 src1_sel:DWORD
	s_mov_b32 s10, -1
	s_and_saveexec_b32 s23, s24
; %bb.896:                              ;   in Loop: Header=BB2_625 Depth=2
	s_xor_b32 s10, exec_lo, -1
; %bb.897:                              ;   in Loop: Header=BB2_625 Depth=2
	s_or_b32 exec_lo, exec_lo, s23
	s_and_b32 s10, s10, exec_lo
	s_or_saveexec_b32 s22, s22
	v_mov_b32_e32 v81, 0x7f800001
	s_xor_b32 exec_lo, exec_lo, s22
	s_cbranch_execz .LBB2_679
.LBB2_898:                              ;   in Loop: Header=BB2_625 Depth=2
	v_cmp_ne_u16_sdwa s23, v54, v55 src0_sel:BYTE_3 src1_sel:DWORD
	v_mov_b32_e32 v81, 0
	s_andn2_b32 s10, s10, exec_lo
	s_and_b32 s23, s23, exec_lo
	s_or_b32 s10, s10, s23
	s_or_b32 exec_lo, exec_lo, s22
	s_and_saveexec_b32 s22, s10
	s_cbranch_execnz .LBB2_680
	s_branch .LBB2_681
.LBB2_899:                              ;   in Loop: Header=BB2_625 Depth=2
	v_cmp_eq_u16_sdwa s24, v81, v41 src0_sel:BYTE_0 src1_sel:DWORD
	s_mov_b32 s10, -1
	s_and_saveexec_b32 s23, s24
; %bb.900:                              ;   in Loop: Header=BB2_625 Depth=2
	s_xor_b32 s10, exec_lo, -1
; %bb.901:                              ;   in Loop: Header=BB2_625 Depth=2
	s_or_b32 exec_lo, exec_lo, s23
	s_and_b32 s10, s10, exec_lo
	s_or_saveexec_b32 s22, s22
	v_mov_b32_e32 v18, 0x7f800001
	s_xor_b32 exec_lo, exec_lo, s22
	s_cbranch_execz .LBB2_691
.LBB2_902:                              ;   in Loop: Header=BB2_625 Depth=2
	v_cmp_ne_u16_sdwa s23, v81, v55 src0_sel:BYTE_0 src1_sel:DWORD
	v_mov_b32_e32 v18, 0
	s_andn2_b32 s10, s10, exec_lo
	s_and_b32 s23, s23, exec_lo
	s_or_b32 s10, s10, s23
	s_or_b32 exec_lo, exec_lo, s22
	s_and_saveexec_b32 s22, s10
	s_cbranch_execnz .LBB2_692
	s_branch .LBB2_693
.LBB2_903:                              ;   in Loop: Header=BB2_625 Depth=2
	v_cmp_eq_u16_sdwa s24, v81, v41 src0_sel:BYTE_1 src1_sel:DWORD
	s_mov_b32 s10, -1
	s_and_saveexec_b32 s23, s24
; %bb.904:                              ;   in Loop: Header=BB2_625 Depth=2
	s_xor_b32 s10, exec_lo, -1
; %bb.905:                              ;   in Loop: Header=BB2_625 Depth=2
	s_or_b32 exec_lo, exec_lo, s23
	s_and_b32 s10, s10, exec_lo
	s_or_saveexec_b32 s22, s22
	v_mov_b32_e32 v18, 0x7f800001
	s_xor_b32 exec_lo, exec_lo, s22
	s_cbranch_execz .LBB2_703
.LBB2_906:                              ;   in Loop: Header=BB2_625 Depth=2
	v_cmp_ne_u16_sdwa s23, v81, v55 src0_sel:BYTE_1 src1_sel:DWORD
	v_mov_b32_e32 v18, 0
	s_andn2_b32 s10, s10, exec_lo
	s_and_b32 s23, s23, exec_lo
	s_or_b32 s10, s10, s23
	s_or_b32 exec_lo, exec_lo, s22
	s_and_saveexec_b32 s22, s10
	s_cbranch_execnz .LBB2_704
	s_branch .LBB2_705
.LBB2_907:                              ;   in Loop: Header=BB2_625 Depth=2
	s_mov_b32 s10, -1
	s_mov_b32 s23, exec_lo
	v_cmpx_eq_u16_e32 0x80, v56
; %bb.908:                              ;   in Loop: Header=BB2_625 Depth=2
	s_xor_b32 s10, exec_lo, -1
; %bb.909:                              ;   in Loop: Header=BB2_625 Depth=2
	s_or_b32 exec_lo, exec_lo, s23
	s_and_b32 s10, s10, exec_lo
                                        ; implicit-def: $vgpr56
	s_or_saveexec_b32 s22, s22
	v_mov_b32_e32 v18, 0x7f800001
	s_xor_b32 exec_lo, exec_lo, s22
	s_cbranch_execz .LBB2_715
.LBB2_910:                              ;   in Loop: Header=BB2_625 Depth=2
	v_cmp_ne_u16_e32 vcc_lo, 0, v56
	v_mov_b32_e32 v18, 0
	s_andn2_b32 s10, s10, exec_lo
	s_and_b32 s23, vcc_lo, exec_lo
	s_or_b32 s10, s10, s23
	s_or_b32 exec_lo, exec_lo, s22
	s_and_saveexec_b32 s22, s10
	s_cbranch_execnz .LBB2_716
	s_branch .LBB2_717
.LBB2_911:                              ;   in Loop: Header=BB2_625 Depth=2
	v_cmp_eq_u16_sdwa s24, v81, v41 src0_sel:BYTE_3 src1_sel:DWORD
	s_mov_b32 s10, -1
	s_and_saveexec_b32 s23, s24
; %bb.912:                              ;   in Loop: Header=BB2_625 Depth=2
	s_xor_b32 s10, exec_lo, -1
; %bb.913:                              ;   in Loop: Header=BB2_625 Depth=2
	s_or_b32 exec_lo, exec_lo, s23
	s_and_b32 s10, s10, exec_lo
	s_or_saveexec_b32 s22, s22
	v_mov_b32_e32 v56, 0x7f800001
	s_xor_b32 exec_lo, exec_lo, s22
	s_cbranch_execz .LBB2_727
.LBB2_914:                              ;   in Loop: Header=BB2_625 Depth=2
	v_cmp_ne_u16_sdwa s23, v81, v55 src0_sel:BYTE_3 src1_sel:DWORD
	v_mov_b32_e32 v56, 0
	s_andn2_b32 s10, s10, exec_lo
	s_and_b32 s23, s23, exec_lo
	s_or_b32 s10, s10, s23
	s_or_b32 exec_lo, exec_lo, s22
	s_and_saveexec_b32 s22, s10
	s_cbranch_execnz .LBB2_728
	s_branch .LBB2_729
.LBB2_915:                              ;   in Loop: Header=BB2_625 Depth=2
	v_cmp_eq_u16_sdwa s24, v17, v41 src0_sel:BYTE_0 src1_sel:DWORD
	s_mov_b32 s10, -1
	s_and_saveexec_b32 s23, s24
; %bb.916:                              ;   in Loop: Header=BB2_625 Depth=2
	s_xor_b32 s10, exec_lo, -1
; %bb.917:                              ;   in Loop: Header=BB2_625 Depth=2
	s_or_b32 exec_lo, exec_lo, s23
	s_and_b32 s10, s10, exec_lo
	s_or_saveexec_b32 s22, s22
	v_mov_b32_e32 v57, 0x7f800001
	s_xor_b32 exec_lo, exec_lo, s22
	s_cbranch_execz .LBB2_739
.LBB2_918:                              ;   in Loop: Header=BB2_625 Depth=2
	v_cmp_ne_u16_sdwa s23, v17, v55 src0_sel:BYTE_0 src1_sel:DWORD
	v_mov_b32_e32 v57, 0
	s_andn2_b32 s10, s10, exec_lo
	s_and_b32 s23, s23, exec_lo
	s_or_b32 s10, s10, s23
	s_or_b32 exec_lo, exec_lo, s22
	s_and_saveexec_b32 s22, s10
	s_cbranch_execnz .LBB2_740
	s_branch .LBB2_741
.LBB2_919:                              ;   in Loop: Header=BB2_625 Depth=2
	v_cmp_eq_u16_sdwa s24, v56, v41 src0_sel:BYTE_0 src1_sel:DWORD
	s_mov_b32 s10, -1
	s_and_saveexec_b32 s23, s24
; %bb.920:                              ;   in Loop: Header=BB2_625 Depth=2
	s_xor_b32 s10, exec_lo, -1
; %bb.921:                              ;   in Loop: Header=BB2_625 Depth=2
	s_or_b32 exec_lo, exec_lo, s23
	s_and_b32 s10, s10, exec_lo
	s_or_saveexec_b32 s22, s22
	v_mov_b32_e32 v20, 0x7f800001
	s_xor_b32 exec_lo, exec_lo, s22
	s_cbranch_execz .LBB2_743
.LBB2_922:                              ;   in Loop: Header=BB2_625 Depth=2
	v_cmp_ne_u16_sdwa s23, v56, v55 src0_sel:BYTE_0 src1_sel:DWORD
	v_mov_b32_e32 v20, 0
	s_andn2_b32 s10, s10, exec_lo
	s_and_b32 s23, s23, exec_lo
	s_or_b32 s10, s10, s23
	s_or_b32 exec_lo, exec_lo, s22
	s_and_saveexec_b32 s22, s10
	s_cbranch_execnz .LBB2_744
	s_branch .LBB2_745
.LBB2_923:                              ;   in Loop: Header=BB2_625 Depth=2
	v_cmp_eq_u16_sdwa s24, v17, v41 src0_sel:BYTE_1 src1_sel:DWORD
	s_mov_b32 s10, -1
	s_and_saveexec_b32 s23, s24
; %bb.924:                              ;   in Loop: Header=BB2_625 Depth=2
	s_xor_b32 s10, exec_lo, -1
; %bb.925:                              ;   in Loop: Header=BB2_625 Depth=2
	s_or_b32 exec_lo, exec_lo, s23
	s_and_b32 s10, s10, exec_lo
	s_or_saveexec_b32 s22, s22
	v_mov_b32_e32 v82, 0x7f800001
	s_xor_b32 exec_lo, exec_lo, s22
	s_cbranch_execz .LBB2_755
.LBB2_926:                              ;   in Loop: Header=BB2_625 Depth=2
	v_cmp_ne_u16_sdwa s23, v17, v55 src0_sel:BYTE_1 src1_sel:DWORD
	v_mov_b32_e32 v82, 0
	s_andn2_b32 s10, s10, exec_lo
	s_and_b32 s23, s23, exec_lo
	s_or_b32 s10, s10, s23
	s_or_b32 exec_lo, exec_lo, s22
	s_and_saveexec_b32 s22, s10
	s_cbranch_execnz .LBB2_756
	s_branch .LBB2_757
.LBB2_927:                              ;   in Loop: Header=BB2_625 Depth=2
	v_cmp_eq_u16_sdwa s24, v56, v41 src0_sel:BYTE_1 src1_sel:DWORD
	s_mov_b32 s10, -1
	s_and_saveexec_b32 s23, s24
; %bb.928:                              ;   in Loop: Header=BB2_625 Depth=2
	s_xor_b32 s10, exec_lo, -1
; %bb.929:                              ;   in Loop: Header=BB2_625 Depth=2
	s_or_b32 exec_lo, exec_lo, s23
	s_and_b32 s10, s10, exec_lo
	s_or_saveexec_b32 s22, s22
	v_mov_b32_e32 v57, 0x7f800001
	s_xor_b32 exec_lo, exec_lo, s22
	s_cbranch_execz .LBB2_759
.LBB2_930:                              ;   in Loop: Header=BB2_625 Depth=2
	v_cmp_ne_u16_sdwa s23, v56, v55 src0_sel:BYTE_1 src1_sel:DWORD
	v_mov_b32_e32 v57, 0
	s_andn2_b32 s10, s10, exec_lo
	s_and_b32 s23, s23, exec_lo
	s_or_b32 s10, s10, s23
	s_or_b32 exec_lo, exec_lo, s22
	s_and_saveexec_b32 s22, s10
	s_cbranch_execnz .LBB2_760
	s_branch .LBB2_761
.LBB2_931:                              ;   in Loop: Header=BB2_625 Depth=2
	s_mov_b32 s10, -1
	s_mov_b32 s23, exec_lo
	v_cmpx_eq_u16_e32 0x80, v58
; %bb.932:                              ;   in Loop: Header=BB2_625 Depth=2
	s_xor_b32 s10, exec_lo, -1
; %bb.933:                              ;   in Loop: Header=BB2_625 Depth=2
	s_or_b32 exec_lo, exec_lo, s23
	s_and_b32 s10, s10, exec_lo
                                        ; implicit-def: $vgpr58
	s_or_saveexec_b32 s22, s22
	v_mov_b32_e32 v57, 0x7f800001
	s_xor_b32 exec_lo, exec_lo, s22
	s_cbranch_execz .LBB2_771
.LBB2_934:                              ;   in Loop: Header=BB2_625 Depth=2
	v_cmp_ne_u16_e32 vcc_lo, 0, v58
	v_mov_b32_e32 v57, 0
	s_andn2_b32 s10, s10, exec_lo
	s_and_b32 s23, vcc_lo, exec_lo
	s_or_b32 s10, s10, s23
	s_or_b32 exec_lo, exec_lo, s22
	s_and_saveexec_b32 s22, s10
	s_cbranch_execnz .LBB2_772
	s_branch .LBB2_773
.LBB2_935:                              ;   in Loop: Header=BB2_625 Depth=2
	v_cmp_eq_u16_sdwa s24, v96, v41 src0_sel:BYTE_0 src1_sel:DWORD
	s_mov_b32 s10, -1
	s_and_saveexec_b32 s23, s24
; %bb.936:                              ;   in Loop: Header=BB2_625 Depth=2
	s_xor_b32 s10, exec_lo, -1
; %bb.937:                              ;   in Loop: Header=BB2_625 Depth=2
	s_or_b32 exec_lo, exec_lo, s23
	s_and_b32 s10, s10, exec_lo
	s_or_saveexec_b32 s22, s22
	v_mov_b32_e32 v58, 0x7f800001
	s_xor_b32 exec_lo, exec_lo, s22
	s_cbranch_execz .LBB2_775
.LBB2_938:                              ;   in Loop: Header=BB2_625 Depth=2
	v_cmp_ne_u16_sdwa s23, v96, v55 src0_sel:BYTE_0 src1_sel:DWORD
	v_mov_b32_e32 v58, 0
	s_andn2_b32 s10, s10, exec_lo
	s_and_b32 s23, s23, exec_lo
	s_or_b32 s10, s10, s23
	s_or_b32 exec_lo, exec_lo, s22
	v_lshl_or_b32 v47, v96, 16, v56
	s_and_saveexec_b32 s22, s10
	s_cbranch_execnz .LBB2_776
	s_branch .LBB2_777
.LBB2_939:                              ;   in Loop: Header=BB2_625 Depth=2
	v_cmp_eq_u16_sdwa s24, v17, v41 src0_sel:BYTE_3 src1_sel:DWORD
	s_mov_b32 s10, -1
	s_and_saveexec_b32 s23, s24
; %bb.940:                              ;   in Loop: Header=BB2_625 Depth=2
	s_xor_b32 s10, exec_lo, -1
; %bb.941:                              ;   in Loop: Header=BB2_625 Depth=2
	s_or_b32 exec_lo, exec_lo, s23
	s_and_b32 s10, s10, exec_lo
	s_or_saveexec_b32 s22, s22
	v_mov_b32_e32 v56, 0x7f800001
	s_xor_b32 exec_lo, exec_lo, s22
	s_cbranch_execz .LBB2_787
.LBB2_942:                              ;   in Loop: Header=BB2_625 Depth=2
	v_cmp_ne_u16_sdwa s23, v17, v55 src0_sel:BYTE_3 src1_sel:DWORD
	v_mov_b32_e32 v56, 0
	s_andn2_b32 s10, s10, exec_lo
	s_and_b32 s23, s23, exec_lo
	s_or_b32 s10, s10, s23
	s_or_b32 exec_lo, exec_lo, s22
	s_and_saveexec_b32 s22, s10
	s_cbranch_execnz .LBB2_788
	s_branch .LBB2_789
.LBB2_943:                              ;   in Loop: Header=BB2_625 Depth=2
	v_cmp_eq_u16_sdwa s24, v47, v41 src0_sel:BYTE_3 src1_sel:DWORD
	s_mov_b32 s10, -1
	s_and_saveexec_b32 s23, s24
; %bb.944:                              ;   in Loop: Header=BB2_625 Depth=2
	s_xor_b32 s10, exec_lo, -1
; %bb.945:                              ;   in Loop: Header=BB2_625 Depth=2
	s_or_b32 exec_lo, exec_lo, s23
	s_and_b32 s10, s10, exec_lo
	s_or_saveexec_b32 s22, s22
	v_mov_b32_e32 v17, 0x7f800001
	s_xor_b32 exec_lo, exec_lo, s22
	s_cbranch_execz .LBB2_791
.LBB2_946:                              ;   in Loop: Header=BB2_625 Depth=2
	v_cmp_ne_u16_sdwa s23, v47, v55 src0_sel:BYTE_3 src1_sel:DWORD
	v_mov_b32_e32 v17, 0
	s_andn2_b32 s10, s10, exec_lo
	s_and_b32 s23, s23, exec_lo
	s_or_b32 s10, s10, s23
	s_or_b32 exec_lo, exec_lo, s22
	s_and_saveexec_b32 s22, s10
	s_cbranch_execnz .LBB2_792
	s_branch .LBB2_793
.LBB2_947:                              ;   in Loop: Header=BB2_625 Depth=2
	v_cmp_eq_u16_sdwa s24, v19, v41 src0_sel:BYTE_0 src1_sel:DWORD
	s_mov_b32 s10, -1
	s_and_saveexec_b32 s23, s24
; %bb.948:                              ;   in Loop: Header=BB2_625 Depth=2
	s_xor_b32 s10, exec_lo, -1
; %bb.949:                              ;   in Loop: Header=BB2_625 Depth=2
	s_or_b32 exec_lo, exec_lo, s23
	s_and_b32 s10, s10, exec_lo
	s_or_saveexec_b32 s22, s22
	v_mov_b32_e32 v47, 0x7f800001
	s_xor_b32 exec_lo, exec_lo, s22
	s_cbranch_execz .LBB2_803
.LBB2_950:                              ;   in Loop: Header=BB2_625 Depth=2
	v_cmp_ne_u16_sdwa s23, v19, v55 src0_sel:BYTE_0 src1_sel:DWORD
	v_mov_b32_e32 v47, 0
	s_andn2_b32 s10, s10, exec_lo
	s_and_b32 s23, s23, exec_lo
	s_or_b32 s10, s10, s23
	s_or_b32 exec_lo, exec_lo, s22
	s_and_saveexec_b32 s22, s10
	s_cbranch_execnz .LBB2_804
	s_branch .LBB2_805
.LBB2_951:                              ;   in Loop: Header=BB2_625 Depth=2
	v_cmp_eq_u16_sdwa s24, v97, v41 src0_sel:BYTE_0 src1_sel:DWORD
	s_mov_b32 s10, -1
	s_and_saveexec_b32 s23, s24
; %bb.952:                              ;   in Loop: Header=BB2_625 Depth=2
	s_xor_b32 s10, exec_lo, -1
; %bb.953:                              ;   in Loop: Header=BB2_625 Depth=2
	s_or_b32 exec_lo, exec_lo, s23
	s_and_b32 s10, s10, exec_lo
	s_or_saveexec_b32 s22, s22
	v_mov_b32_e32 v54, 0x7f800001
	s_xor_b32 exec_lo, exec_lo, s22
	s_cbranch_execz .LBB2_807
.LBB2_954:                              ;   in Loop: Header=BB2_625 Depth=2
	v_cmp_ne_u16_sdwa s23, v97, v55 src0_sel:BYTE_0 src1_sel:DWORD
	v_mov_b32_e32 v54, 0
	s_andn2_b32 s10, s10, exec_lo
	s_and_b32 s23, s23, exec_lo
	s_or_b32 s10, s10, s23
	s_or_b32 exec_lo, exec_lo, s22
	s_and_saveexec_b32 s22, s10
	s_cbranch_execnz .LBB2_808
	s_branch .LBB2_809
.LBB2_955:                              ;   in Loop: Header=BB2_625 Depth=2
	v_cmp_eq_u16_sdwa s24, v19, v41 src0_sel:BYTE_1 src1_sel:DWORD
	s_mov_b32 s10, -1
	s_and_saveexec_b32 s23, s24
; %bb.956:                              ;   in Loop: Header=BB2_625 Depth=2
	s_xor_b32 s10, exec_lo, -1
; %bb.957:                              ;   in Loop: Header=BB2_625 Depth=2
	s_or_b32 exec_lo, exec_lo, s23
	s_and_b32 s10, s10, exec_lo
	s_or_saveexec_b32 s22, s22
	v_mov_b32_e32 v47, 0x7f800001
	s_xor_b32 exec_lo, exec_lo, s22
	s_cbranch_execz .LBB2_819
.LBB2_958:                              ;   in Loop: Header=BB2_625 Depth=2
	v_cmp_ne_u16_sdwa s23, v19, v55 src0_sel:BYTE_1 src1_sel:DWORD
	v_mov_b32_e32 v47, 0
	s_andn2_b32 s10, s10, exec_lo
	s_and_b32 s23, s23, exec_lo
	s_or_b32 s10, s10, s23
	s_or_b32 exec_lo, exec_lo, s22
	s_and_saveexec_b32 s22, s10
	s_cbranch_execnz .LBB2_820
	s_branch .LBB2_821
.LBB2_959:                              ;   in Loop: Header=BB2_625 Depth=2
	v_cmp_eq_u16_sdwa s24, v97, v41 src0_sel:BYTE_1 src1_sel:DWORD
	s_mov_b32 s10, -1
	s_and_saveexec_b32 s23, s24
; %bb.960:                              ;   in Loop: Header=BB2_625 Depth=2
	s_xor_b32 s10, exec_lo, -1
; %bb.961:                              ;   in Loop: Header=BB2_625 Depth=2
	s_or_b32 exec_lo, exec_lo, s23
	s_and_b32 s10, s10, exec_lo
	s_or_saveexec_b32 s22, s22
	v_mov_b32_e32 v56, 0x7f800001
	s_xor_b32 exec_lo, exec_lo, s22
	s_cbranch_execz .LBB2_823
.LBB2_962:                              ;   in Loop: Header=BB2_625 Depth=2
	v_cmp_ne_u16_sdwa s23, v97, v55 src0_sel:BYTE_1 src1_sel:DWORD
	v_mov_b32_e32 v56, 0
	s_andn2_b32 s10, s10, exec_lo
	s_and_b32 s23, s23, exec_lo
	s_or_b32 s10, s10, s23
	s_or_b32 exec_lo, exec_lo, s22
	s_and_saveexec_b32 s22, s10
	s_cbranch_execnz .LBB2_824
	s_branch .LBB2_825
.LBB2_963:                              ;   in Loop: Header=BB2_625 Depth=2
	s_mov_b32 s10, -1
	s_mov_b32 s23, exec_lo
	v_cmpx_eq_u16_e32 0x80, v57
; %bb.964:                              ;   in Loop: Header=BB2_625 Depth=2
	s_xor_b32 s10, exec_lo, -1
; %bb.965:                              ;   in Loop: Header=BB2_625 Depth=2
	s_or_b32 exec_lo, exec_lo, s23
	s_and_b32 s10, s10, exec_lo
                                        ; implicit-def: $vgpr57
	s_or_saveexec_b32 s22, s22
	v_mov_b32_e32 v56, 0x7f800001
	s_xor_b32 exec_lo, exec_lo, s22
	s_cbranch_execz .LBB2_835
.LBB2_966:                              ;   in Loop: Header=BB2_625 Depth=2
	v_cmp_ne_u16_e32 vcc_lo, 0, v57
	v_mov_b32_e32 v56, 0
	s_andn2_b32 s10, s10, exec_lo
	s_and_b32 s23, vcc_lo, exec_lo
	s_or_b32 s10, s10, s23
	s_or_b32 exec_lo, exec_lo, s22
	s_and_saveexec_b32 s22, s10
	s_cbranch_execnz .LBB2_836
	s_branch .LBB2_837
.LBB2_967:                              ;   in Loop: Header=BB2_625 Depth=2
	v_cmp_eq_u16_sdwa s24, v18, v41 src0_sel:BYTE_0 src1_sel:DWORD
	s_mov_b32 s10, -1
	s_and_saveexec_b32 s23, s24
; %bb.968:                              ;   in Loop: Header=BB2_625 Depth=2
	s_xor_b32 s10, exec_lo, -1
; %bb.969:                              ;   in Loop: Header=BB2_625 Depth=2
	s_or_b32 exec_lo, exec_lo, s23
	s_and_b32 s10, s10, exec_lo
	s_or_saveexec_b32 s22, s22
	v_mov_b32_e32 v57, 0x7f800001
	s_xor_b32 exec_lo, exec_lo, s22
	s_cbranch_execz .LBB2_839
.LBB2_970:                              ;   in Loop: Header=BB2_625 Depth=2
	v_cmp_ne_u16_sdwa s23, v18, v55 src0_sel:BYTE_0 src1_sel:DWORD
	v_mov_b32_e32 v57, 0
	s_andn2_b32 s10, s10, exec_lo
	s_and_b32 s23, s23, exec_lo
	s_or_b32 s10, s10, s23
	s_or_b32 exec_lo, exec_lo, s22
	v_lshl_or_b32 v81, v18, 16, v97
	s_and_saveexec_b32 s22, s10
	s_cbranch_execnz .LBB2_840
	s_branch .LBB2_841
.LBB2_971:                              ;   in Loop: Header=BB2_625 Depth=2
	v_cmp_eq_u16_sdwa s24, v19, v41 src0_sel:BYTE_3 src1_sel:DWORD
	s_mov_b32 s10, -1
	s_and_saveexec_b32 s23, s24
; %bb.972:                              ;   in Loop: Header=BB2_625 Depth=2
	s_xor_b32 s10, exec_lo, -1
; %bb.973:                              ;   in Loop: Header=BB2_625 Depth=2
	s_or_b32 exec_lo, exec_lo, s23
	s_and_b32 s10, s10, exec_lo
	s_or_saveexec_b32 s22, s22
	v_mov_b32_e32 v97, 0x7f800001
	s_xor_b32 exec_lo, exec_lo, s22
	s_cbranch_execz .LBB2_851
.LBB2_974:                              ;   in Loop: Header=BB2_625 Depth=2
	v_cmp_ne_u16_sdwa s23, v19, v55 src0_sel:BYTE_3 src1_sel:DWORD
	v_mov_b32_e32 v97, 0
	s_andn2_b32 s10, s10, exec_lo
	s_and_b32 s23, s23, exec_lo
	s_or_b32 s10, s10, s23
	s_or_b32 exec_lo, exec_lo, s22
	s_and_saveexec_b32 s22, s10
	s_cbranch_execnz .LBB2_852
	s_branch .LBB2_853
.LBB2_975:                              ;   in Loop: Header=BB2_625 Depth=2
	v_cmp_eq_u16_sdwa s24, v81, v41 src0_sel:BYTE_3 src1_sel:DWORD
	s_mov_b32 s10, -1
	s_and_saveexec_b32 s23, s24
; %bb.976:                              ;   in Loop: Header=BB2_625 Depth=2
	s_xor_b32 s10, exec_lo, -1
; %bb.977:                              ;   in Loop: Header=BB2_625 Depth=2
	s_or_b32 exec_lo, exec_lo, s23
	s_and_b32 s10, s10, exec_lo
	s_or_saveexec_b32 s22, s22
	v_mov_b32_e32 v19, 0x7f800001
	s_xor_b32 exec_lo, exec_lo, s22
	s_cbranch_execz .LBB2_855
.LBB2_978:                              ;   in Loop: Header=BB2_625 Depth=2
	v_cmp_ne_u16_sdwa s23, v81, v55 src0_sel:BYTE_3 src1_sel:DWORD
	v_mov_b32_e32 v19, 0
	s_andn2_b32 s10, s10, exec_lo
	s_and_b32 s23, s23, exec_lo
	s_or_b32 s10, s10, s23
	s_or_b32 exec_lo, exec_lo, s22
	s_and_saveexec_b32 s22, s10
	s_cbranch_execnz .LBB2_856
	s_branch .LBB2_857
.LBB2_979:                              ;   in Loop: Header=BB2_44 Depth=1
	s_or_b32 exec_lo, exec_lo, s12
	s_or_b32 exec_lo, exec_lo, s11
	s_and_saveexec_b32 s10, s7
	s_cbranch_execz .LBB2_622
.LBB2_980:                              ;   in Loop: Header=BB2_44 Depth=1
	s_and_saveexec_b32 s11, s19
	s_xor_b32 s11, exec_lo, s11
	s_cbranch_execz .LBB2_995
; %bb.981:                              ;   in Loop: Header=BB2_44 Depth=1
	s_and_saveexec_b32 s12, s8
	s_cbranch_execz .LBB2_994
; %bb.982:                              ;   in Loop: Header=BB2_44 Depth=1
	s_mov_b32 s23, exec_lo
	s_mov_b32 s22, exec_lo
	v_mbcnt_lo_u32_b32 v17, s23, 0
	s_waitcnt vmcnt(0) lgkmcnt(0)
	s_waitcnt_vscnt null, 0x0
	buffer_gl1_inv
	buffer_gl0_inv
	v_cmpx_eq_u32_e32 0, v17
	s_cbranch_execz .LBB2_984
; %bb.983:                              ;   in Loop: Header=BB2_44 Depth=1
	s_bcnt1_i32_b32 s23, s23
	v_mov_b32_e32 v54, s23
	ds_add_u64 v0, v[54:55]
	s_trap 2
.LBB2_984:                              ;   in Loop: Header=BB2_44 Depth=1
	s_or_b32 exec_lo, exec_lo, s22
	s_trap 2
	ds_read_b64 v[17:18], v0
	s_waitcnt lgkmcnt(0)
	buffer_gl0_inv
	v_add_co_u32 v2, vcc_lo, v2, v102
	v_add_co_ci_u32_e64 v3, null, 0, v3, vcc_lo
	s_mov_b32 s22, exec_lo
	v_cmpx_lt_u64_e64 v[17:18], v[2:3]
	s_cbranch_execz .LBB2_993
; %bb.985:                              ;   in Loop: Header=BB2_44 Depth=1
	s_mov_b32 s23, 0
	s_mov_b32 s26, 0
                                        ; implicit-def: $sgpr24
                                        ; implicit-def: $sgpr25
	s_inst_prefetch 0x1
	s_branch .LBB2_987
	.p2align	6
.LBB2_986:                              ;   in Loop: Header=BB2_987 Depth=2
	s_or_b32 exec_lo, exec_lo, s28
	s_and_b32 s27, exec_lo, s29
	s_or_b32 s23, s27, s23
	s_andn2_b32 s24, s24, exec_lo
	s_and_b32 s27, s25, exec_lo
	s_or_b32 s24, s24, s27
	s_andn2_b32 exec_lo, exec_lo, s23
	s_cbranch_execz .LBB2_991
.LBB2_987:                              ;   Parent Loop BB2_44 Depth=1
                                        ; =>  This Inner Loop Header: Depth=2
	s_add_i32 s26, s26, 1
	s_cmpk_lg_i32 s26, 0x2710
	s_cselect_b32 s27, -1, 0
	s_and_b32 vcc_lo, exec_lo, s27
	s_cbranch_vccz .LBB2_989
; %bb.988:                              ;   in Loop: Header=BB2_987 Depth=2
	s_mov_b32 s29, -1
	s_or_b32 s25, s25, exec_lo
	s_and_saveexec_b32 s28, s27
	s_cbranch_execz .LBB2_986
	s_branch .LBB2_990
	.p2align	6
.LBB2_989:                              ;   in Loop: Header=BB2_987 Depth=2
	s_trap 2
	ds_read_b64 v[17:18], v0
	s_andn2_b32 s27, s27, exec_lo
	s_mov_b32 s26, 0
	s_waitcnt lgkmcnt(0)
	flat_load_dword v17, v[17:18] glc dlc
	s_waitcnt vmcnt(0) lgkmcnt(0)
	buffer_gl1_inv
	buffer_gl0_inv
	v_cmp_eq_u32_e32 vcc_lo, 0, v17
	s_and_b32 s28, vcc_lo, exec_lo
	s_or_b32 s27, s27, s28
	s_mov_b32 s29, -1
	s_or_b32 s25, s25, exec_lo
	s_and_saveexec_b32 s28, s27
	s_cbranch_execz .LBB2_986
.LBB2_990:                              ;   in Loop: Header=BB2_987 Depth=2
	s_sleep 1
	s_trap 2
	ds_read_b64 v[17:18], v0
	s_waitcnt lgkmcnt(0)
	buffer_gl0_inv
	s_andn2_b32 s25, s25, exec_lo
	v_cmp_ge_u64_e32 vcc_lo, v[17:18], v[2:3]
	s_orn2_b32 s29, vcc_lo, exec_lo
	s_branch .LBB2_986
.LBB2_991:                              ;   in Loop: Header=BB2_44 Depth=1
	s_inst_prefetch 0x2
	s_or_b32 exec_lo, exec_lo, s23
	s_and_saveexec_b32 s23, s24
	s_xor_b32 s23, exec_lo, s23
	s_cbranch_execz .LBB2_993
; %bb.992:                              ;   in Loop: Header=BB2_44 Depth=1
	ds_write_b32 v0, v119
	s_trap 2
.LBB2_993:                              ;   in Loop: Header=BB2_44 Depth=1
	s_or_b32 exec_lo, exec_lo, s22
	;;#ASMSTART
	s_wakeup
	;;#ASMEND
.LBB2_994:                              ;   in Loop: Header=BB2_44 Depth=1
	s_or_b32 exec_lo, exec_lo, s12
.LBB2_995:                              ;   in Loop: Header=BB2_44 Depth=1
	s_andn2_saveexec_b32 s11, s11
	s_cbranch_execz .LBB2_997
; %bb.996:                              ;   in Loop: Header=BB2_44 Depth=1
	s_waitcnt vmcnt(0) lgkmcnt(0)
	s_waitcnt_vscnt null, 0x0
	buffer_gl1_inv
	buffer_gl0_inv
	s_barrier
.LBB2_997:                              ;   in Loop: Header=BB2_44 Depth=1
	s_or_b32 exec_lo, exec_lo, s11
	s_or_b32 exec_lo, exec_lo, s10
	s_and_saveexec_b32 s10, s9
	s_cbranch_execz .LBB2_43
.LBB2_998:                              ;   in Loop: Header=BB2_44 Depth=1
	v_add_co_u32 v38, vcc_lo, v38, 1
	v_add_co_ci_u32_e64 v39, null, 0, v39, vcc_lo
	s_waitcnt vmcnt(0) lgkmcnt(0)
	s_waitcnt_vscnt null, 0x0
	flat_store_dwordx2 v[48:49], v[38:39]
	s_branch .LBB2_43
.LBB2_999:
	s_or_b32 exec_lo, exec_lo, s20
	s_or_b32 exec_lo, exec_lo, s17
	s_and_saveexec_b32 s5, s16
	s_cbranch_execz .LBB2_28
.LBB2_1000:
	s_waitcnt vmcnt(0) lgkmcnt(0)
	flat_store_dwordx2 v[29:30], v[38:39] offset:104
	s_or_b32 exec_lo, exec_lo, s5
	s_and_saveexec_b32 s5, s4
	s_cbranch_execnz .LBB2_29
	s_branch .LBB2_30
.LBB2_1001:
	s_inst_prefetch 0x2
	s_or_b32 exec_lo, exec_lo, s8
	s_and_saveexec_b32 s8, s9
	s_xor_b32 s8, exec_lo, s8
	s_cbranch_execz .LBB2_1003
; %bb.1002:
	v_mov_b32_e32 v0, 1
	ds_write_b32 v0, v0
	s_trap 2
.LBB2_1003:
	s_or_b32 exec_lo, exec_lo, s7
	;;#ASMSTART
	s_wakeup
	;;#ASMEND
.LBB2_1004:
	s_or_b32 exec_lo, exec_lo, s6
.LBB2_1005:
	s_andn2_saveexec_b32 s5, s5
	s_cbranch_execz .LBB2_1007
; %bb.1006:
	s_waitcnt lgkmcnt(0)
	s_waitcnt_vscnt null, 0x0
	buffer_gl1_inv
	buffer_gl0_inv
	s_barrier
.LBB2_1007:
	s_or_b32 exec_lo, exec_lo, s4
	s_clause 0x19
	buffer_load_dword v89, off, s[0:3], s32
	buffer_load_dword v88, off, s[0:3], s32 offset:4
	buffer_load_dword v79, off, s[0:3], s32 offset:8
	;; [unrolled: 1-line block ×25, first 2 shown]
	s_waitcnt vmcnt(0) lgkmcnt(0)
	s_setpc_b64 s[30:31]
.Lfunc_end2:
	.size	_ZN12_GLOBAL__N_17runRingI11rccl_float813FuncPreMulSumIS1_E7ProtoLLLi0ELi2ELi0EEEviiP15ncclDevWorkColl, .Lfunc_end2-_ZN12_GLOBAL__N_17runRingI11rccl_float813FuncPreMulSumIS1_E7ProtoLLLi0ELi2ELi0EEEviiP15ncclDevWorkColl
                                        ; -- End function
	.set .L_ZN12_GLOBAL__N_17runRingI11rccl_float813FuncPreMulSumIS1_E7ProtoLLLi0ELi2ELi0EEEviiP15ncclDevWorkColl.num_vgpr, 120
	.set .L_ZN12_GLOBAL__N_17runRingI11rccl_float813FuncPreMulSumIS1_E7ProtoLLLi0ELi2ELi0EEEviiP15ncclDevWorkColl.num_agpr, 0
	.set .L_ZN12_GLOBAL__N_17runRingI11rccl_float813FuncPreMulSumIS1_E7ProtoLLLi0ELi2ELi0EEEviiP15ncclDevWorkColl.numbered_sgpr, 44
	.set .L_ZN12_GLOBAL__N_17runRingI11rccl_float813FuncPreMulSumIS1_E7ProtoLLLi0ELi2ELi0EEEviiP15ncclDevWorkColl.num_named_barrier, 0
	.set .L_ZN12_GLOBAL__N_17runRingI11rccl_float813FuncPreMulSumIS1_E7ProtoLLLi0ELi2ELi0EEEviiP15ncclDevWorkColl.private_seg_size, 108
	.set .L_ZN12_GLOBAL__N_17runRingI11rccl_float813FuncPreMulSumIS1_E7ProtoLLLi0ELi2ELi0EEEviiP15ncclDevWorkColl.uses_vcc, 1
	.set .L_ZN12_GLOBAL__N_17runRingI11rccl_float813FuncPreMulSumIS1_E7ProtoLLLi0ELi2ELi0EEEviiP15ncclDevWorkColl.uses_flat_scratch, 1
	.set .L_ZN12_GLOBAL__N_17runRingI11rccl_float813FuncPreMulSumIS1_E7ProtoLLLi0ELi2ELi0EEEviiP15ncclDevWorkColl.has_dyn_sized_stack, 0
	.set .L_ZN12_GLOBAL__N_17runRingI11rccl_float813FuncPreMulSumIS1_E7ProtoLLLi0ELi2ELi0EEEviiP15ncclDevWorkColl.has_recursion, 0
	.set .L_ZN12_GLOBAL__N_17runRingI11rccl_float813FuncPreMulSumIS1_E7ProtoLLLi0ELi2ELi0EEEviiP15ncclDevWorkColl.has_indirect_call, 0
	.section	.AMDGPU.csdata,"",@progbits
; Function info:
; codeLenInByte = 36608
; TotalNumSgprs: 46
; NumVgprs: 120
; ScratchSize: 108
; MemoryBound: 0
	.text
	.p2align	2                               ; -- Begin function _Z56ncclDevFunc_ReduceScatter_RING_LL_PreMulSum_f8e4m3_0_0_2v
	.type	_Z56ncclDevFunc_ReduceScatter_RING_LL_PreMulSum_f8e4m3_0_0_2v,@function
_Z56ncclDevFunc_ReduceScatter_RING_LL_PreMulSum_f8e4m3_0_0_2v: ; @_Z56ncclDevFunc_ReduceScatter_RING_LL_PreMulSum_f8e4m3_0_0_2v
; %bb.0:
	s_waitcnt vmcnt(0) expcnt(0) lgkmcnt(0)
	s_mov_b32 s57, s33
	s_mov_b32 s33, s32
	s_or_saveexec_b32 s4, -1
	buffer_store_dword v42, off, s[0:3], s33 offset:8 ; 4-byte Folded Spill
	s_mov_b32 exec_lo, s4
	s_addk_i32 s32, 0x200
	buffer_store_dword v40, off, s[0:3], s33 offset:4 ; 4-byte Folded Spill
	buffer_store_dword v41, off, s[0:3], s33 ; 4-byte Folded Spill
	v_writelane_b32 v42, s30, 0
	v_writelane_b32 v42, s31, 1
	s_trap 2
	ds_read_b32 v0, v0
	v_and_b32_e32 v40, 0x3ff, v31
	s_mov_b32 s46, s12
	s_mov_b64 s[44:45], s[8:9]
	s_mov_b32 s4, exec_lo
	s_waitcnt lgkmcnt(0)
	v_cmpx_lt_i32_e64 v40, v0
	s_cbranch_execz .LBB3_5
; %bb.1:
	s_load_dword s5, s[44:45], 0x0
	v_mov_b32_e32 v1, 0
	v_mov_b32_e32 v3, v40
                                        ; implicit-def: $vgpr4
	s_waitcnt lgkmcnt(0)
	s_cmp_lt_u32 s46, s5
	s_cselect_b32 s5, 12, 18
	s_add_u32 s6, s44, s5
	s_addc_u32 s7, s45, 0
	s_mov_b32 s5, 0
	global_load_ushort v1, v1, s[6:7]
	s_trap 2
	ds_read_b32 v2, v0
	s_mov_b32 s6, 0
	s_waitcnt vmcnt(0) lgkmcnt(0)
	v_mul_lo_u32 v2, v2, v1
	s_branch .LBB3_3
	.p2align	6
.LBB3_2:                                ;   in Loop: Header=BB3_3 Depth=1
	s_or_b32 exec_lo, exec_lo, s7
	v_add_nc_u32_e32 v3, v3, v1
	v_add_nc_u32_e32 v4, v4, v2
	v_cmp_ge_i32_e32 vcc_lo, v3, v0
	s_or_b32 s6, vcc_lo, s6
	s_andn2_b32 exec_lo, exec_lo, s6
	s_cbranch_execz .LBB3_5
.LBB3_3:                                ; =>This Inner Loop Header: Depth=1
	ds_read_b32 v5, v4
	s_mov_b32 s7, exec_lo
	s_waitcnt lgkmcnt(0)
	v_and_b32_e32 v5, 0x1000000, v5
	v_cmpx_ne_u32_e32 0, v5
	s_cbranch_execz .LBB3_2
; %bb.4:                                ;   in Loop: Header=BB3_3 Depth=1
	ds_read_b64 v[5:6], v4 offset:104
	s_waitcnt lgkmcnt(0)
	flat_load_ubyte v5, v[5:6]
	v_mov_b32_e32 v6, s5
	s_waitcnt vmcnt(0) lgkmcnt(0)
	v_and_b32_e32 v5, 0xffff, v5
	ds_write_b64 v4, v[5:6] offset:104
	s_branch .LBB3_2
.LBB3_5:
	s_or_b32 exec_lo, exec_lo, s4
	s_waitcnt lgkmcnt(0)
	s_waitcnt_vscnt null, 0x0
	s_barrier
	buffer_gl0_inv
	s_trap 2
	ds_read_b32 v0, v0
	s_waitcnt lgkmcnt(0)
	v_cmp_gt_i32_e32 vcc_lo, 1, v0
	s_cbranch_vccnz .LBB3_13
; %bb.6:
	v_mov_b32_e32 v41, 5
	s_mov_b32 s47, 0
	s_inst_prefetch 0x1
	s_branch .LBB3_8
	.p2align	6
.LBB3_7:                                ;   in Loop: Header=BB3_8 Depth=1
	s_or_b32 exec_lo, exec_lo, s56
	s_trap 2
	ds_read_b32 v0, v0
	s_add_i32 s47, s47, 1
	s_waitcnt lgkmcnt(0)
	v_cmp_lt_i32_e32 vcc_lo, s47, v0
	s_cbranch_vccz .LBB3_13
.LBB3_8:                                ; =>This Inner Loop Header: Depth=1
	s_trap 2
	ds_read_b32 v0, v0
	s_cmp_eq_u32 s47, 0
	s_cbranch_scc1 .LBB3_11
; %bb.9:                                ;   in Loop: Header=BB3_8 Depth=1
	s_trap 2
	s_waitcnt lgkmcnt(0)
	ds_read_b32 v1, v0
	s_waitcnt lgkmcnt(0)
	v_xor_b32_e32 v1, v1, v0
	v_and_b32_e32 v1, 0xff0000, v1
	v_cmp_eq_u32_e32 vcc_lo, 0, v1
	s_cbranch_vccnz .LBB3_11
; %bb.10:                               ;   in Loop: Header=BB3_8 Depth=1
	s_barrier
	buffer_gl0_inv
	ds_read_b32 v0, v0
.LBB3_11:                               ;   in Loop: Header=BB3_8 Depth=1
	s_waitcnt lgkmcnt(0)
	v_lshlrev_b32_sdwa v1, v41, v0 dst_sel:DWORD dst_unused:UNUSED_PAD src0_sel:DWORD src1_sel:BYTE_2
	s_mov_b32 s56, exec_lo
	v_cmpx_lt_u32_e64 v40, v1
	s_cbranch_execz .LBB3_7
; %bb.12:                               ;   in Loop: Header=BB3_8 Depth=1
	s_mov_b64 s[4:5], src_shared_base
	v_mov_b32_e32 v0, v40
	v_mov_b32_e32 v3, s5
	s_getpc_b64 s[6:7]
	s_add_u32 s6, s6, _ZN12_GLOBAL__N_17runRingI11rccl_float813FuncPreMulSumIS1_E7ProtoLLLi0ELi2ELi0EEEviiP15ncclDevWorkColl@rel32@lo+4
	s_addc_u32 s7, s7, _ZN12_GLOBAL__N_17runRingI11rccl_float813FuncPreMulSumIS1_E7ProtoLLLi0ELi2ELi0EEEviiP15ncclDevWorkColl@rel32@hi+12
	s_mov_b64 s[8:9], s[44:45]
	s_mov_b32 s12, s46
	s_swappc_b64 s[30:31], s[6:7]
	s_branch .LBB3_7
.LBB3_13:
	s_inst_prefetch 0x2
	s_clause 0x1
	buffer_load_dword v41, off, s[0:3], s33
	buffer_load_dword v40, off, s[0:3], s33 offset:4
	v_readlane_b32 s30, v42, 0
	v_readlane_b32 s31, v42, 1
	s_mov_b32 s32, s33
	s_or_saveexec_b32 s4, -1
	buffer_load_dword v42, off, s[0:3], s33 offset:8 ; 4-byte Folded Reload
	s_mov_b32 exec_lo, s4
	s_mov_b32 s33, s57
	s_waitcnt vmcnt(0)
	s_setpc_b64 s[30:31]
.Lfunc_end3:
	.size	_Z56ncclDevFunc_ReduceScatter_RING_LL_PreMulSum_f8e4m3_0_0_2v, .Lfunc_end3-_Z56ncclDevFunc_ReduceScatter_RING_LL_PreMulSum_f8e4m3_0_0_2v
                                        ; -- End function
	.set .L_Z56ncclDevFunc_ReduceScatter_RING_LL_PreMulSum_f8e4m3_0_0_2v.num_vgpr, max(43, .L_ZN12_GLOBAL__N_17runRingI11rccl_float813FuncPreMulSumIS1_E7ProtoLLLi0ELi2ELi0EEEviiP15ncclDevWorkColl.num_vgpr)
	.set .L_Z56ncclDevFunc_ReduceScatter_RING_LL_PreMulSum_f8e4m3_0_0_2v.num_agpr, max(0, .L_ZN12_GLOBAL__N_17runRingI11rccl_float813FuncPreMulSumIS1_E7ProtoLLLi0ELi2ELi0EEEviiP15ncclDevWorkColl.num_agpr)
	.set .L_Z56ncclDevFunc_ReduceScatter_RING_LL_PreMulSum_f8e4m3_0_0_2v.numbered_sgpr, max(58, .L_ZN12_GLOBAL__N_17runRingI11rccl_float813FuncPreMulSumIS1_E7ProtoLLLi0ELi2ELi0EEEviiP15ncclDevWorkColl.numbered_sgpr)
	.set .L_Z56ncclDevFunc_ReduceScatter_RING_LL_PreMulSum_f8e4m3_0_0_2v.num_named_barrier, max(0, .L_ZN12_GLOBAL__N_17runRingI11rccl_float813FuncPreMulSumIS1_E7ProtoLLLi0ELi2ELi0EEEviiP15ncclDevWorkColl.num_named_barrier)
	.set .L_Z56ncclDevFunc_ReduceScatter_RING_LL_PreMulSum_f8e4m3_0_0_2v.private_seg_size, 16+max(.L_ZN12_GLOBAL__N_17runRingI11rccl_float813FuncPreMulSumIS1_E7ProtoLLLi0ELi2ELi0EEEviiP15ncclDevWorkColl.private_seg_size)
	.set .L_Z56ncclDevFunc_ReduceScatter_RING_LL_PreMulSum_f8e4m3_0_0_2v.uses_vcc, or(1, .L_ZN12_GLOBAL__N_17runRingI11rccl_float813FuncPreMulSumIS1_E7ProtoLLLi0ELi2ELi0EEEviiP15ncclDevWorkColl.uses_vcc)
	.set .L_Z56ncclDevFunc_ReduceScatter_RING_LL_PreMulSum_f8e4m3_0_0_2v.uses_flat_scratch, or(0, .L_ZN12_GLOBAL__N_17runRingI11rccl_float813FuncPreMulSumIS1_E7ProtoLLLi0ELi2ELi0EEEviiP15ncclDevWorkColl.uses_flat_scratch)
	.set .L_Z56ncclDevFunc_ReduceScatter_RING_LL_PreMulSum_f8e4m3_0_0_2v.has_dyn_sized_stack, or(0, .L_ZN12_GLOBAL__N_17runRingI11rccl_float813FuncPreMulSumIS1_E7ProtoLLLi0ELi2ELi0EEEviiP15ncclDevWorkColl.has_dyn_sized_stack)
	.set .L_Z56ncclDevFunc_ReduceScatter_RING_LL_PreMulSum_f8e4m3_0_0_2v.has_recursion, or(1, .L_ZN12_GLOBAL__N_17runRingI11rccl_float813FuncPreMulSumIS1_E7ProtoLLLi0ELi2ELi0EEEviiP15ncclDevWorkColl.has_recursion)
	.set .L_Z56ncclDevFunc_ReduceScatter_RING_LL_PreMulSum_f8e4m3_0_0_2v.has_indirect_call, or(0, .L_ZN12_GLOBAL__N_17runRingI11rccl_float813FuncPreMulSumIS1_E7ProtoLLLi0ELi2ELi0EEEviiP15ncclDevWorkColl.has_indirect_call)
	.section	.AMDGPU.csdata,"",@progbits
; Function info:
; codeLenInByte = 644
; TotalNumSgprs: 60
; NumVgprs: 120
; ScratchSize: 124
; MemoryBound: 0
	.text
	.p2align	2                               ; -- Begin function _ZN12_GLOBAL__N_17runRingI11rccl_float813FuncPreMulSumIS1_E7ProtoLLLi0ELi4ELi0EEEviiP15ncclDevWorkColl
	.type	_ZN12_GLOBAL__N_17runRingI11rccl_float813FuncPreMulSumIS1_E7ProtoLLLi0ELi4ELi0EEEviiP15ncclDevWorkColl,@function
_ZN12_GLOBAL__N_17runRingI11rccl_float813FuncPreMulSumIS1_E7ProtoLLLi0ELi4ELi0EEEviiP15ncclDevWorkColl: ; @_ZN12_GLOBAL__N_17runRingI11rccl_float813FuncPreMulSumIS1_E7ProtoLLLi0ELi4ELi0EEEviiP15ncclDevWorkColl
; %bb.0:
	s_waitcnt vmcnt(0) expcnt(0) lgkmcnt(0)
	buffer_store_dword v40, off, s[0:3], s32 offset:100 ; 4-byte Folded Spill
	buffer_store_dword v41, off, s[0:3], s32 offset:96 ; 4-byte Folded Spill
	;; [unrolled: 1-line block ×25, first 2 shown]
	buffer_store_dword v89, off, s[0:3], s32 ; 4-byte Folded Spill
	s_trap 2
	s_clause 0x2
	flat_load_dword v10, v[2:3]
	flat_load_dwordx4 v[5:8], v[2:3] offset:72
	flat_load_dwordx2 v[17:18], v[2:3] offset:88
	v_mov_b32_e32 v4, v0
                                        ; implicit-def: $vgpr25_vgpr26
	s_waitcnt vmcnt(2) lgkmcnt(2)
	v_not_b32_sdwa v0, v10 dst_sel:DWORD dst_unused:UNUSED_PAD src0_sel:BYTE_0
	ds_read_b32 v9, v0
	ds_read_b64 v[23:24], v0
	v_add_nc_u32_sdwa v11, v10, v0 dst_sel:DWORD dst_unused:UNUSED_PAD src0_sel:BYTE_1 src1_sel:DWORD
	v_ashrrev_i32_e32 v12, 31, v11
	s_waitcnt vmcnt(1) lgkmcnt(3)
	v_mul_lo_u32 v13, v8, v11
	v_mad_u64_u32 v[19:20], null, v7, v11, 0
	v_mul_lo_u32 v11, v7, v12
	v_add3_u32 v54, v20, v11, v13
	s_waitcnt lgkmcnt(1)
	v_readfirstlane_b32 s14, v9
	v_cmp_ne_u32_sdwa s4, v9, v10 src0_sel:DWORD src1_sel:BYTE_0
                                        ; implicit-def: $vgpr20_vgpr21
	s_and_saveexec_b32 s5, s4
	s_xor_b32 s4, exec_lo, s5
	s_cbranch_execz .LBB4_6
; %bb.1:
	v_cmp_ne_u32_sdwa s5, v9, v10 src0_sel:DWORD src1_sel:BYTE_1
                                        ; implicit-def: $vgpr20_vgpr21
                                        ; implicit-def: $vgpr25_vgpr26
	s_and_saveexec_b32 s6, s5
	s_xor_b32 s5, exec_lo, s6
	s_cbranch_execz .LBB4_3
; %bb.2:
	flat_load_dwordx2 v[10:11], v[2:3] offset:96
	v_add_nc_u32_e32 v0, v9, v0
	v_ashrrev_i32_e32 v9, 31, v0
	v_mul_lo_u32 v12, v8, v0
	v_mad_u64_u32 v[25:26], null, v7, v0, v[5:6]
	v_mul_lo_u32 v9, v7, v9
	v_add3_u32 v26, v12, v26, v9
	s_waitcnt vmcnt(0) lgkmcnt(0)
	v_lshrrev_b64 v[20:21], 17, v[10:11]
.LBB4_3:
	s_andn2_saveexec_b32 s5, s5
	s_cbranch_execz .LBB4_5
; %bb.4:
	flat_load_dword v0, v[2:3] offset:100
	v_add_co_u32 v25, vcc_lo, v19, v5
	s_waitcnt vmcnt(1)
	v_mov_b32_e32 v7, v17
	v_add_co_ci_u32_e64 v26, null, v54, v6, vcc_lo
	v_mov_b32_e32 v8, v18
	s_waitcnt vmcnt(0) lgkmcnt(0)
	v_lshrrev_b32_e32 v20, 6, v0
.LBB4_5:
	s_or_b32 exec_lo, exec_lo, s5
.LBB4_6:
	s_andn2_saveexec_b32 s4, s4
	s_cbranch_execz .LBB4_8
; %bb.7:
	flat_load_dwordx2 v[7:8], v[2:3] offset:96
	v_mov_b32_e32 v25, 0
	v_mov_b32_e32 v26, 0
	s_waitcnt vmcnt(0) lgkmcnt(0)
	v_lshlrev_b64 v[20:21], 4, v[7:8]
	v_mov_b32_e32 v8, v6
	v_mov_b32_e32 v7, v5
.LBB4_8:
	s_or_b32 exec_lo, exec_lo, s4
	s_clause 0x3
	flat_load_dwordx2 v[15:16], v[2:3] offset:104
	flat_load_dwordx4 v[9:12], v[2:3] offset:16
	flat_load_ushort v14, v[2:3] offset:8
	flat_load_dword v13, v[2:3] offset:4
	v_mov_b32_e32 v0, 0x7f
	s_mov_b32 s4, 0
	s_waitcnt vmcnt(3) lgkmcnt(3)
	v_cmp_gt_i16_sdwa s5, v15, v0 src0_sel:BYTE_0 src1_sel:DWORD
	s_and_saveexec_b32 s6, s5
	s_xor_b32 s5, exec_lo, s6
	s_cbranch_execnz .LBB4_14
; %bb.9:
	s_or_saveexec_b32 s5, s5
	v_mov_b32_e32 v0, 0x7f800001
	s_xor_b32 exec_lo, exec_lo, s5
	s_cbranch_execnz .LBB4_17
.LBB4_10:
	s_or_b32 exec_lo, exec_lo, s5
	s_and_saveexec_b32 s5, s4
	s_cbranch_execz .LBB4_12
.LBB4_11:
	v_and_b32_e32 v0, 7, v15
	v_bfe_u32 v16, v15, 3, 4
	v_ffbh_u32_e32 v2, v0
	v_cmp_eq_u32_e32 vcc_lo, 0, v16
	v_min_u32_e32 v2, 32, v2
	v_subrev_nc_u32_e32 v3, 28, v2
	v_sub_nc_u32_e32 v2, 29, v2
	v_lshlrev_b32_e32 v3, v3, v15
	v_lshlrev_b32_e32 v15, 24, v15
	v_cndmask_b32_e32 v2, v16, v2, vcc_lo
	v_and_b32_e32 v3, 7, v3
	v_lshl_add_u32 v2, v2, 23, 0x3b800000
	v_cndmask_b32_e32 v0, v0, v3, vcc_lo
	v_and_b32_e32 v3, 0x80000000, v15
	v_lshlrev_b32_e32 v0, 20, v0
	v_or3_b32 v0, v3, v2, v0
.LBB4_12:
	s_or_b32 exec_lo, exec_lo, s5
	s_load_dword s4, s[8:9], 0x0
	v_mov_b32_e32 v3, 0
	s_waitcnt vmcnt(0) lgkmcnt(0)
	v_lshrrev_b64 v[13:14], 31, v[13:14]
	v_and_b32_e32 v38, 31, v4
	v_mov_b32_e32 v27, 0
	v_mov_b32_e32 v28, 0
	s_mov_b32 s6, 0
	v_and_b32_e32 v13, 3, v13
	v_and_b32_e32 v15, 0xffff, v13
	s_cmp_lt_u32 s12, s4
	s_cselect_b32 s4, 12, 18
	s_add_u32 s4, s8, s4
	s_addc_u32 s5, s9, 0
	global_load_ushort v98, v3, s[4:5]
	s_trap 2
	ds_read_b32 v2, v0
	v_cmp_eq_u32_e64 s4, 0, v38
	s_waitcnt lgkmcnt(0)
	v_cmp_gt_i32_e32 vcc_lo, 0, v2
	v_readfirstlane_b32 s5, v2
	s_cbranch_vccnz .LBB4_18
; %bb.13:
	s_trap 2
	ds_read_b64 v[13:14], v0
	v_lshlrev_b64 v[2:3], 3, v[2:3]
	s_mov_b32 s6, 1
	s_waitcnt lgkmcnt(0)
	v_add_co_u32 v2, vcc_lo, v13, v2
	v_add_co_ci_u32_e64 v3, null, v14, v3, vcc_lo
	flat_load_dwordx2 v[2:3], v[2:3]
	s_waitcnt vmcnt(0) lgkmcnt(0)
	v_mad_u64_u32 v[2:3], null, 0xa8, v15, v[2:3]
	s_clause 0x1
	flat_load_dwordx2 v[32:33], v[2:3] offset:504
	flat_load_dwordx2 v[34:35], v[2:3] offset:608
	v_add_co_u32 v29, vcc_lo, 0x1f8, v2
	v_add_co_ci_u32_e64 v30, null, 0, v3, vcc_lo
	v_cndmask_b32_e64 v2, 0, v29, s4
	v_cndmask_b32_e64 v3, 0, v30, s4
	s_branch .LBB4_19
.LBB4_14:
	v_mov_b32_e32 v0, 0x80
	s_mov_b32 s4, -1
	v_cmp_eq_u16_sdwa s7, v15, v0 src0_sel:BYTE_0 src1_sel:DWORD
	s_and_saveexec_b32 s6, s7
; %bb.15:
	s_xor_b32 s4, exec_lo, -1
; %bb.16:
	s_or_b32 exec_lo, exec_lo, s6
	s_and_b32 s4, s4, exec_lo
	s_or_saveexec_b32 s5, s5
	v_mov_b32_e32 v0, 0x7f800001
	s_xor_b32 exec_lo, exec_lo, s5
	s_cbranch_execz .LBB4_10
.LBB4_17:
	v_mov_b32_e32 v0, 0
	s_andn2_b32 s4, s4, exec_lo
	v_cmp_ne_u16_sdwa s6, v15, v0 src0_sel:BYTE_0 src1_sel:DWORD
	s_and_b32 s6, s6, exec_lo
	s_or_b32 s4, s4, s6
	s_or_b32 exec_lo, exec_lo, s5
	s_and_saveexec_b32 s5, s4
	s_cbranch_execnz .LBB4_11
	s_branch .LBB4_12
.LBB4_18:
	v_mov_b32_e32 v29, 0
	v_mov_b32_e32 v2, 0
	;; [unrolled: 1-line block ×4, first 2 shown]
                                        ; implicit-def: $vgpr34_vgpr35
                                        ; implicit-def: $vgpr32_vgpr33
.LBB4_19:
	s_trap 2
	ds_read_b32 v13, v0
	s_waitcnt lgkmcnt(0)
	v_cmp_gt_i32_e32 vcc_lo, 0, v13
	s_cbranch_vccnz .LBB4_21
; %bb.20:
	s_trap 2
	ds_read_b64 v[21:22], v0
	v_mov_b32_e32 v14, 0
	v_lshlrev_b64 v[13:14], 3, v[13:14]
	s_waitcnt lgkmcnt(0)
	v_add_co_u32 v13, vcc_lo, v21, v13
	v_add_co_ci_u32_e64 v14, null, v22, v14, vcc_lo
	v_cmp_eq_u32_e32 vcc_lo, 0, v38
	flat_load_dwordx2 v[13:14], v[13:14]
	s_waitcnt vmcnt(0) lgkmcnt(0)
	v_mad_u64_u32 v[27:28], null, 0xa8, v15, v[13:14]
	s_clause 0x1
	flat_load_dwordx2 v[36:37], v[27:28]
	flat_load_dwordx2 v[21:22], v[27:28] offset:104
	v_cndmask_b32_e32 v16, 0, v28, vcc_lo
	v_cndmask_b32_e32 v15, 0, v27, vcc_lo
	s_branch .LBB4_22
.LBB4_21:
	v_mov_b32_e32 v15, 0
	v_mov_b32_e32 v16, 0
                                        ; implicit-def: $vgpr21_vgpr22
                                        ; implicit-def: $vgpr36_vgpr37
.LBB4_22:
	v_subrev_nc_u32_e32 v13, 32, v1
	v_cmp_gt_u32_e32 vcc_lo, s6, v38
	v_mov_b32_e32 v48, 0
	v_mov_b32_e32 v49, 0
                                        ; implicit-def: $vgpr38_vgpr39
	v_cmp_ge_i32_e64 s4, v4, v13
	v_mov_b32_e32 v13, 0
	v_mov_b32_e32 v14, 0
	s_and_b32 s16, s4, vcc_lo
	s_and_saveexec_b32 s4, s16
	s_cbranch_execz .LBB4_24
; %bb.23:
	s_clause 0x1
	flat_load_dwordx2 v[48:49], v[2:3] offset:56
	flat_load_dwordx2 v[38:39], v[2:3] offset:104
.LBB4_24:
	s_or_b32 exec_lo, exec_lo, s4
	v_mov_b32_e32 v50, 0
	v_mov_b32_e32 v51, 0
	v_cmp_gt_u32_e64 s4, s6, v4
                                        ; implicit-def: $vgpr52_vgpr53
	s_and_saveexec_b32 s6, s4
	s_cbranch_execz .LBB4_26
; %bb.25:
	flat_load_dwordx2 v[50:51], v[15:16] offset:56
	s_waitcnt vmcnt(0) lgkmcnt(0)
	flat_load_dwordx2 v[52:53], v[50:51] glc dlc
	s_waitcnt vmcnt(0)
	flat_load_dwordx4 v[13:16], v[15:16] offset:96
.LBB4_26:
	s_or_b32 exec_lo, exec_lo, s6
	v_mov_b32_e32 v2, 0
	v_mov_b32_e32 v3, 0
	s_mov_b32 s17, exec_lo
	v_cmpx_ne_u64_e32 0, v[7:8]
	s_cbranch_execnz .LBB4_42
; %bb.27:
	s_or_b32 exec_lo, exec_lo, s17
	s_and_saveexec_b32 s5, s16
	s_cbranch_execnz .LBB4_1000
.LBB4_28:
	s_or_b32 exec_lo, exec_lo, s5
	s_and_saveexec_b32 s5, s4
	s_cbranch_execz .LBB4_30
.LBB4_29:
	s_waitcnt vmcnt(0) lgkmcnt(0)
	flat_store_dwordx2 v[27:28], v[15:16] offset:104
.LBB4_30:
	s_or_b32 exec_lo, exec_lo, s5
	s_mov_b32 s4, exec_lo
	v_cmpx_ne_u32_e32 32, v1
	s_cbranch_execz .LBB4_1007
; %bb.31:
	s_waitcnt vmcnt(0)
	v_cmp_ne_u32_sdwa s5, v1, v98 src0_sel:DWORD src1_sel:WORD_0
	s_and_saveexec_b32 s6, s5
	s_xor_b32 s5, exec_lo, s6
	s_cbranch_execz .LBB4_1005
; %bb.32:
	v_and_b32_e32 v0, 31, v31
	s_mov_b32 s6, exec_lo
	v_cmpx_eq_u32_e32 0, v0
	s_cbranch_execz .LBB4_1004
; %bb.33:
	s_mov_b32 s8, exec_lo
	s_mov_b32 s7, exec_lo
	v_mbcnt_lo_u32_b32 v0, s8, 0
	s_waitcnt lgkmcnt(0)
	s_waitcnt_vscnt null, 0x0
	buffer_gl1_inv
	buffer_gl0_inv
	v_cmpx_eq_u32_e32 0, v0
	s_cbranch_execz .LBB4_35
; %bb.34:
	s_bcnt1_i32_b32 s8, s8
	v_mov_b32_e32 v5, 0
	v_mov_b32_e32 v4, s8
	ds_add_u64 v0, v[4:5]
	s_trap 2
.LBB4_35:
	s_or_b32 exec_lo, exec_lo, s7
	s_trap 2
	ds_read_b64 v[4:5], v0
	s_waitcnt lgkmcnt(0)
	buffer_gl0_inv
	v_lshrrev_b32_e32 v0, 5, v1
	s_mov_b32 s7, exec_lo
	v_add_co_u32 v0, vcc_lo, v2, v0
	v_add_co_ci_u32_e64 v1, null, 0, v3, vcc_lo
	v_cmpx_lt_u64_e64 v[4:5], v[0:1]
	s_cbranch_execz .LBB4_1003
; %bb.36:
	s_mov_b32 s8, 0
	s_mov_b32 s11, 0
                                        ; implicit-def: $sgpr9
                                        ; implicit-def: $sgpr10
	s_inst_prefetch 0x1
	s_branch .LBB4_38
	.p2align	6
.LBB4_37:                               ;   in Loop: Header=BB4_38 Depth=1
	s_or_b32 exec_lo, exec_lo, s13
	s_and_b32 s12, exec_lo, s14
	s_or_b32 s8, s12, s8
	s_andn2_b32 s9, s9, exec_lo
	s_and_b32 s12, s10, exec_lo
	s_or_b32 s9, s9, s12
	s_andn2_b32 exec_lo, exec_lo, s8
	s_cbranch_execz .LBB4_1001
.LBB4_38:                               ; =>This Inner Loop Header: Depth=1
	s_add_i32 s11, s11, 1
	s_cmpk_lg_i32 s11, 0x2710
	s_cselect_b32 s12, -1, 0
	s_and_b32 vcc_lo, exec_lo, s12
	s_cbranch_vccz .LBB4_40
; %bb.39:                               ;   in Loop: Header=BB4_38 Depth=1
	s_mov_b32 s14, -1
	s_or_b32 s10, s10, exec_lo
	s_and_saveexec_b32 s13, s12
	s_cbranch_execz .LBB4_37
	s_branch .LBB4_41
	.p2align	6
.LBB4_40:                               ;   in Loop: Header=BB4_38 Depth=1
	s_trap 2
	ds_read_b64 v[2:3], v0
	s_andn2_b32 s12, s12, exec_lo
	s_mov_b32 s11, 0
	s_waitcnt lgkmcnt(0)
	flat_load_dword v2, v[2:3] glc dlc
	s_waitcnt vmcnt(0) lgkmcnt(0)
	buffer_gl1_inv
	buffer_gl0_inv
	v_cmp_eq_u32_e32 vcc_lo, 0, v2
	s_and_b32 s13, vcc_lo, exec_lo
	s_or_b32 s12, s12, s13
	s_mov_b32 s14, -1
	s_or_b32 s10, s10, exec_lo
	s_and_saveexec_b32 s13, s12
	s_cbranch_execz .LBB4_37
.LBB4_41:                               ;   in Loop: Header=BB4_38 Depth=1
	s_sleep 1
	s_trap 2
	ds_read_b64 v[2:3], v0
	s_waitcnt lgkmcnt(0)
	buffer_gl0_inv
	s_andn2_b32 s10, s10, exec_lo
	v_cmp_ge_u64_e32 vcc_lo, v[2:3], v[0:1]
	s_orn2_b32 s14, vcc_lo, exec_lo
	s_branch .LBB4_37
.LBB4_42:
	s_ashr_i32 s6, s5, 31
	s_ashr_i32 s15, s14, 31
	s_lshr_b32 s6, s6, 29
	v_add_co_u32 v2, vcc_lo, v17, v5
	s_add_i32 s5, s5, s6
	s_lshl_b64 s[6:7], s[14:15], 2
	v_add_co_ci_u32_e64 v3, null, v18, v6, vcc_lo
	v_add_co_u32 v5, vcc_lo, v23, s6
	v_add_co_ci_u32_e64 v6, null, s7, v24, vcc_lo
	v_lshlrev_b32_e32 v101, 3, v4
	v_mov_b32_e32 v55, 0
	v_add_co_u32 v99, vcc_lo, v2, v19
	v_add_co_ci_u32_e64 v100, null, v3, v54, vcc_lo
	v_add_co_u32 v66, vcc_lo, v5, -4
	v_and_b32_e32 v2, 31, v31
	v_add_co_ci_u32_e64 v67, null, -1, v6, vcc_lo
	v_add_co_u32 v112, vcc_lo, v11, v101
	v_mov_b32_e32 v5, v55
	s_ashr_i32 s8, s5, 3
	v_add_co_ci_u32_e64 v113, null, 0, v12, vcc_lo
	v_add_co_u32 v114, vcc_lo, v9, v101
	s_and_b32 s15, s8, -16
	v_cmp_eq_u32_e64 s8, 0, v2
	v_add_co_ci_u32_e64 v115, null, 0, v10, vcc_lo
	v_add_co_u32 v2, vcc_lo, v25, v11
	v_lshlrev_b64 v[9:10], 4, v[4:5]
	v_add_co_ci_u32_e64 v3, null, v26, v12, vcc_lo
	v_add_co_u32 v5, vcc_lo, v2, v101
	v_mov_b32_e32 v2, v55
	v_add_co_ci_u32_e64 v6, null, 0, v3, vcc_lo
	s_waitcnt vmcnt(1) lgkmcnt(1)
	v_add_co_u32 v117, vcc_lo, v36, v9
	s_ashr_i32 s18, s5, 7
	v_mov_b32_e32 v68, 0
	v_cmp_ne_u64_e64 s5, 0, v[50:51]
	s_waitcnt vmcnt(0) lgkmcnt(0)
	v_cmp_ne_u64_e64 s6, 0, v[13:14]
	v_cmp_ne_u64_e64 s9, 0, v[48:49]
	v_add_co_ci_u32_e64 v118, null, v37, v10, vcc_lo
	v_lshlrev_b64 v[9:10], 4, v[1:2]
	v_mov_b32_e32 v2, 0
	v_and_b32_e32 v64, 0x1fffff0, v20
	v_mov_b32_e32 v65, v55
	v_mov_b32_e32 v69, 0
	v_cmp_ne_u32_e64 s7, 32, v1
	v_cmp_ne_u32_sdwa s19, v1, v98 src0_sel:DWORD src1_sel:WORD_0
	v_lshrrev_b32_e32 v102, 5, v1
	v_lshlrev_b32_e32 v103, 3, v1
	v_lshlrev_b32_e32 v116, 6, v1
	v_mov_b32_e32 v119, 1
	v_mov_b32_e32 v40, 0x7f
	v_mov_b32_e32 v41, 0x80
	v_mov_b32_e32 v42, 0xffff
	v_mov_b32_e32 v43, 24
	v_mov_b32_e32 v44, 0xff
	v_mov_b32_e32 v3, 0
	v_mov_b32_e32 v45, 0
	s_cmp_gt_i32 s14, 2
	s_mov_b32 s13, 0
	s_cselect_b32 s21, -1, 0
	s_mov_b32 s20, 0
	s_branch .LBB4_44
.LBB4_43:                               ;   in Loop: Header=BB4_44 Depth=1
	s_or_b32 exec_lo, exec_lo, s10
	v_add_co_u32 v68, vcc_lo, v68, v64
	v_add_co_ci_u32_e64 v69, null, 0, v69, vcc_lo
	v_add_co_u32 v34, vcc_lo, v34, 1
	v_add_co_ci_u32_e64 v35, null, 0, v35, vcc_lo
	v_cmp_ge_u64_e32 vcc_lo, v[68:69], v[7:8]
	v_add_co_u32 v5, s10, v5, v64
	v_add_co_ci_u32_e64 v6, null, 0, v6, s10
	s_or_b32 s20, vcc_lo, s20
	s_andn2_b32 exec_lo, exec_lo, s20
	s_cbranch_execz .LBB4_999
.LBB4_44:                               ; =>This Loop Header: Depth=1
                                        ;     Child Loop BB4_49 Depth 2
                                        ;     Child Loop BB4_68 Depth 2
	;; [unrolled: 1-line block ×5, first 2 shown]
                                        ;       Child Loop BB4_226 Depth 3
                                        ;       Child Loop BB4_245 Depth 3
	;; [unrolled: 1-line block ×3, first 2 shown]
                                        ;         Child Loop BB4_275 Depth 4
                                        ;       Child Loop BB4_609 Depth 3
                                        ;       Child Loop BB4_262 Depth 3
                                        ;     Child Loop BB4_625 Depth 2
                                        ;       Child Loop BB4_633 Depth 3
                                        ;     Child Loop BB4_987 Depth 2
	s_waitcnt vmcnt(0) lgkmcnt(0)
	flat_load_dword v19, v[66:67]
	v_sub_co_u32 v17, vcc_lo, v7, v68
	v_sub_co_ci_u32_e64 v18, null, v8, v69, vcc_lo
	v_cmp_lt_u64_e32 vcc_lo, v[64:65], v[17:18]
	v_cndmask_b32_e32 v20, v17, v64, vcc_lo
	v_lshl_add_u32 v17, v20, 1, 14
	v_and_b32_e32 v47, 0x7fffff0, v17
	s_and_saveexec_b32 s11, s5
	s_cbranch_execz .LBB4_60
; %bb.45:                               ;   in Loop: Header=BB4_44 Depth=1
	v_add_co_u32 v17, vcc_lo, v15, 1
	v_add_co_ci_u32_e64 v18, null, 0, v16, vcc_lo
	v_add_co_u32 v70, vcc_lo, v52, 8
	v_add_co_ci_u32_e64 v71, null, 0, v53, vcc_lo
	s_mov_b32 s12, exec_lo
	v_cmpx_lt_u64_e64 v[70:71], v[17:18]
	s_cbranch_execz .LBB4_57
; %bb.46:                               ;   in Loop: Header=BB4_44 Depth=1
	s_mov_b32 s22, 0
	s_mov_b32 s26, 0
	v_cmp_eq_u32_e32 vcc_lo, 0, v45
                                        ; implicit-def: $sgpr23
                                        ; implicit-def: $sgpr24
                                        ; implicit-def: $sgpr25
	s_branch .LBB4_49
.LBB4_47:                               ;   in Loop: Header=BB4_49 Depth=2
	s_or_b32 exec_lo, exec_lo, s41
	s_andn2_b32 s10, s25, exec_lo
	s_and_b32 s25, s29, exec_lo
	s_andn2_b32 s24, s24, exec_lo
	s_and_b32 s28, s28, exec_lo
	s_or_b32 s25, s10, s25
	s_or_b32 s24, s24, s28
.LBB4_48:                               ;   in Loop: Header=BB4_49 Depth=2
	s_or_b32 exec_lo, exec_lo, s27
	s_and_b32 s10, exec_lo, s24
	s_or_b32 s22, s10, s22
	s_andn2_b32 s10, s23, exec_lo
	s_and_b32 s23, s25, exec_lo
	s_or_b32 s23, s10, s23
	s_andn2_b32 exec_lo, exec_lo, s22
	s_cbranch_execz .LBB4_54
.LBB4_49:                               ;   Parent Loop BB4_44 Depth=1
                                        ; =>  This Inner Loop Header: Depth=2
	s_sleep 1
	s_waitcnt vmcnt(0) lgkmcnt(0)
	flat_load_dwordx2 v[52:53], v[50:51] glc dlc
	v_mov_b32_e32 v45, 1
	s_or_b32 s25, s25, exec_lo
	s_or_b32 s24, s24, exec_lo
                                        ; implicit-def: $vgpr16
	s_and_saveexec_b32 s27, vcc_lo
	s_cbranch_execz .LBB4_48
; %bb.50:                               ;   in Loop: Header=BB4_49 Depth=2
	s_add_i32 s26, s26, 1
	s_mov_b32 s28, -1
	s_cmpk_lg_i32 s26, 0x2710
	s_mov_b32 s29, -1
	s_cselect_b32 s40, -1, 0
	s_cmpk_eq_i32 s26, 0x2710
                                        ; implicit-def: $vgpr16
	s_cbranch_scc1 .LBB4_52
; %bb.51:                               ;   in Loop: Header=BB4_49 Depth=2
	v_mov_b32_e32 v45, 1
	s_and_saveexec_b32 s41, s40
	s_cbranch_execz .LBB4_47
	s_branch .LBB4_53
.LBB4_52:                               ;   in Loop: Header=BB4_49 Depth=2
	s_trap 2
	ds_read_b64 v[70:71], v0
	s_andn2_b32 s26, s40, exec_lo
	s_mov_b32 s29, 0
	s_waitcnt vmcnt(0) lgkmcnt(0)
	s_waitcnt_vscnt null, 0x0
	flat_load_dword v16, v[70:71] glc dlc
	s_waitcnt vmcnt(0) lgkmcnt(0)
	buffer_gl1_inv
	buffer_gl0_inv
	v_cmp_eq_u32_e64 s10, 0, v16
	s_and_b32 s10, s10, exec_lo
	s_or_b32 s40, s26, s10
	s_mov_b32 s26, 0
	v_mov_b32_e32 v45, 1
	s_and_saveexec_b32 s41, s40
	s_cbranch_execz .LBB4_47
.LBB4_53:                               ;   in Loop: Header=BB4_49 Depth=2
	s_waitcnt vmcnt(0) lgkmcnt(0)
	v_add_co_u32 v70, s10, v52, 8
	v_add_co_ci_u32_e64 v71, null, 0, v53, s10
	v_mov_b32_e32 v45, 0
	s_or_b32 s29, s29, exec_lo
	v_cmp_ge_u64_e64 s10, v[70:71], v[17:18]
	s_orn2_b32 s28, s10, exec_lo
	s_branch .LBB4_47
.LBB4_54:                               ;   in Loop: Header=BB4_44 Depth=1
	s_or_b32 exec_lo, exec_lo, s22
	s_xor_b32 s10, s23, -1
	s_and_saveexec_b32 s22, s10
	s_xor_b32 s10, exec_lo, s22
	s_cbranch_execz .LBB4_56
; %bb.55:                               ;   in Loop: Header=BB4_44 Depth=1
	v_mov_b32_e32 v45, 1
	s_waitcnt vmcnt(0) lgkmcnt(0)
	s_waitcnt_vscnt null, 0x0
	ds_write_b32 v0, v16
	s_trap 2
.LBB4_56:                               ;   in Loop: Header=BB4_44 Depth=1
	s_or_b32 exec_lo, exec_lo, s10
.LBB4_57:                               ;   in Loop: Header=BB4_44 Depth=1
	s_or_b32 exec_lo, exec_lo, s12
	s_and_saveexec_b32 s10, s6
	s_cbranch_execz .LBB4_59
; %bb.58:                               ;   in Loop: Header=BB4_44 Depth=1
	v_and_b32_e32 v54, 0x7ffffff8, v15
	v_and_b32_e32 v16, 7, v15
	v_cmp_eq_u64_e32 vcc_lo, 0x7ffffff8, v[54:55]
	v_mad_u64_u32 v[70:71], null, v16, 24, v[13:14]
	v_cndmask_b32_e64 v15, v47, s15, vcc_lo
	v_ashrrev_i32_e32 v16, 31, v15
	flat_store_dwordx2 v[70:71], v[15:16] offset:8
	s_waitcnt_vscnt null, 0x0
.LBB4_59:                               ;   in Loop: Header=BB4_44 Depth=1
	s_or_b32 exec_lo, exec_lo, s10
	v_mov_b32_e32 v15, v17
	v_mov_b32_e32 v16, v18
.LBB4_60:                               ;   in Loop: Header=BB4_44 Depth=1
	s_or_b32 exec_lo, exec_lo, s11
	s_and_saveexec_b32 s10, s7
	s_cbranch_execz .LBB4_79
; %bb.61:                               ;   in Loop: Header=BB4_44 Depth=1
	s_and_saveexec_b32 s11, s19
	s_xor_b32 s11, exec_lo, s11
	s_cbranch_execz .LBB4_76
; %bb.62:                               ;   in Loop: Header=BB4_44 Depth=1
	s_and_saveexec_b32 s12, s8
	s_cbranch_execz .LBB4_75
; %bb.63:                               ;   in Loop: Header=BB4_44 Depth=1
	s_mov_b32 s23, exec_lo
	s_mov_b32 s22, exec_lo
	v_mbcnt_lo_u32_b32 v17, s23, 0
	s_waitcnt vmcnt(0) lgkmcnt(0)
	s_waitcnt_vscnt null, 0x0
	buffer_gl1_inv
	buffer_gl0_inv
	v_cmpx_eq_u32_e32 0, v17
	s_cbranch_execz .LBB4_65
; %bb.64:                               ;   in Loop: Header=BB4_44 Depth=1
	s_bcnt1_i32_b32 s23, s23
	v_mov_b32_e32 v54, s23
	ds_add_u64 v0, v[54:55]
	s_trap 2
.LBB4_65:                               ;   in Loop: Header=BB4_44 Depth=1
	s_or_b32 exec_lo, exec_lo, s22
	s_trap 2
	ds_read_b64 v[17:18], v0
	s_waitcnt lgkmcnt(0)
	buffer_gl0_inv
	v_add_co_u32 v2, vcc_lo, v2, v102
	v_add_co_ci_u32_e64 v3, null, 0, v3, vcc_lo
	s_mov_b32 s22, exec_lo
	v_cmpx_lt_u64_e64 v[17:18], v[2:3]
	s_cbranch_execz .LBB4_74
; %bb.66:                               ;   in Loop: Header=BB4_44 Depth=1
	s_mov_b32 s23, 0
	s_mov_b32 s26, 0
                                        ; implicit-def: $sgpr24
                                        ; implicit-def: $sgpr25
	s_inst_prefetch 0x1
	s_branch .LBB4_68
	.p2align	6
.LBB4_67:                               ;   in Loop: Header=BB4_68 Depth=2
	s_or_b32 exec_lo, exec_lo, s28
	s_and_b32 s27, exec_lo, s29
	s_or_b32 s23, s27, s23
	s_andn2_b32 s24, s24, exec_lo
	s_and_b32 s27, s25, exec_lo
	s_or_b32 s24, s24, s27
	s_andn2_b32 exec_lo, exec_lo, s23
	s_cbranch_execz .LBB4_72
.LBB4_68:                               ;   Parent Loop BB4_44 Depth=1
                                        ; =>  This Inner Loop Header: Depth=2
	s_add_i32 s26, s26, 1
	s_cmpk_lg_i32 s26, 0x2710
	s_cselect_b32 s27, -1, 0
	s_and_b32 vcc_lo, exec_lo, s27
	s_cbranch_vccz .LBB4_70
; %bb.69:                               ;   in Loop: Header=BB4_68 Depth=2
	s_mov_b32 s29, -1
	s_or_b32 s25, s25, exec_lo
	s_and_saveexec_b32 s28, s27
	s_cbranch_execz .LBB4_67
	s_branch .LBB4_71
	.p2align	6
.LBB4_70:                               ;   in Loop: Header=BB4_68 Depth=2
	s_trap 2
	ds_read_b64 v[17:18], v0
	s_andn2_b32 s27, s27, exec_lo
	s_mov_b32 s26, 0
	s_waitcnt lgkmcnt(0)
	flat_load_dword v17, v[17:18] glc dlc
	s_waitcnt vmcnt(0) lgkmcnt(0)
	buffer_gl1_inv
	buffer_gl0_inv
	v_cmp_eq_u32_e32 vcc_lo, 0, v17
	s_and_b32 s28, vcc_lo, exec_lo
	s_or_b32 s27, s27, s28
	s_mov_b32 s29, -1
	s_or_b32 s25, s25, exec_lo
	s_and_saveexec_b32 s28, s27
	s_cbranch_execz .LBB4_67
.LBB4_71:                               ;   in Loop: Header=BB4_68 Depth=2
	s_sleep 1
	s_trap 2
	ds_read_b64 v[17:18], v0
	s_waitcnt lgkmcnt(0)
	buffer_gl0_inv
	s_andn2_b32 s25, s25, exec_lo
	v_cmp_ge_u64_e32 vcc_lo, v[17:18], v[2:3]
	s_orn2_b32 s29, vcc_lo, exec_lo
	s_branch .LBB4_67
.LBB4_72:                               ;   in Loop: Header=BB4_44 Depth=1
	s_inst_prefetch 0x2
	s_or_b32 exec_lo, exec_lo, s23
	s_and_saveexec_b32 s23, s24
	s_xor_b32 s23, exec_lo, s23
	s_cbranch_execz .LBB4_74
; %bb.73:                               ;   in Loop: Header=BB4_44 Depth=1
	ds_write_b32 v0, v119
	s_trap 2
.LBB4_74:                               ;   in Loop: Header=BB4_44 Depth=1
	s_or_b32 exec_lo, exec_lo, s22
	;;#ASMSTART
	s_wakeup
	;;#ASMEND
.LBB4_75:                               ;   in Loop: Header=BB4_44 Depth=1
	s_or_b32 exec_lo, exec_lo, s12
.LBB4_76:                               ;   in Loop: Header=BB4_44 Depth=1
	s_andn2_saveexec_b32 s11, s11
	s_cbranch_execz .LBB4_78
; %bb.77:                               ;   in Loop: Header=BB4_44 Depth=1
	s_waitcnt vmcnt(0) lgkmcnt(0)
	s_waitcnt_vscnt null, 0x0
	buffer_gl1_inv
	buffer_gl0_inv
	s_barrier
.LBB4_78:                               ;   in Loop: Header=BB4_44 Depth=1
	s_or_b32 exec_lo, exec_lo, s11
.LBB4_79:                               ;   in Loop: Header=BB4_44 Depth=1
	s_or_b32 exec_lo, exec_lo, s10
	v_sub_nc_u32_e32 v46, v20, v101
	v_and_b32_e32 v71, 7, v21
	v_add_nc_u32_e32 v18, 1, v21
	v_mov_b32_e32 v70, v4
	v_cmp_lt_i32_e64 s10, 0, v46
	s_and_saveexec_b32 s12, s10
	s_cbranch_execz .LBB4_215
; %bb.80:                               ;   in Loop: Header=BB4_44 Depth=1
	v_mul_lo_u32 v82, v71, s18
	s_waitcnt vmcnt(0) lgkmcnt(0)
	v_ashrrev_i32_e32 v17, 31, v19
	v_mad_u64_u32 v[80:81], null, v99, v19, v[5:6]
	v_mul_lo_u32 v54, v100, v19
	v_mul_lo_u32 v70, v99, v19
	;; [unrolled: 1-line block ×3, first 2 shown]
	v_mov_b32_e32 v84, v46
	v_ashrrev_i32_e32 v83, 31, v82
	s_mov_b32 s22, 0
	v_add_lshl_u32 v85, v5, v70, 3
	v_lshlrev_b64 v[19:20], 4, v[82:83]
	v_add3_u32 v81, v54, v81, v17
	v_mov_b32_e32 v70, v4
	v_add_co_u32 v82, vcc_lo, v117, v19
	v_add_co_ci_u32_e64 v83, null, v118, v20, vcc_lo
	s_branch .LBB4_84
.LBB4_81:                               ;   in Loop: Header=BB4_84 Depth=2
	s_or_b32 exec_lo, exec_lo, s11
	v_lshrrev_b32_e32 v57, 20, v57
	v_min_i32_e32 v58, 15, v56
	v_cmp_gt_i32_e32 vcc_lo, 16, v56
	v_and_b32_sdwa v86, v86, v41 dst_sel:DWORD dst_unused:UNUSED_PAD src0_sel:BYTE_3 src1_sel:DWORD
	v_lshlrev_b32_e32 v58, 3, v58
	v_cndmask_b32_e32 v57, 7, v57, vcc_lo
	v_and_b32_e32 v58, 0xf8, v58
	v_and_b32_e32 v59, 7, v57
	v_or_b32_e32 v56, v56, v57
	v_or3_b32 v86, v86, v58, v59
	v_cmp_ne_u32_e32 vcc_lo, 0, v56
	v_lshlrev_b32_e32 v86, 8, v86
	v_cndmask_b32_e32 v56, 0, v86, vcc_lo
.LBB4_82:                               ;   in Loop: Header=BB4_84 Depth=2
	s_or_b32 exec_lo, exec_lo, s24
.LBB4_83:                               ;   in Loop: Header=BB4_84 Depth=2
	s_or_b32 exec_lo, exec_lo, s23
	v_or_b32_e32 v17, v19, v17
	v_or_b32_sdwa v19, v54, v20 dst_sel:WORD_1 dst_unused:UNUSED_PAD src0_sel:DWORD src1_sel:DWORD
	v_or_b32_e32 v54, v96, v87
	v_or_b32_sdwa v86, v56, v97 dst_sel:WORD_1 dst_unused:UNUSED_PAD src0_sel:DWORD src1_sel:DWORD
	v_mov_b32_e32 v20, v18
	v_sub_nc_u32_e32 v84, v84, v103
	v_or3_b32 v17, v17, v19, 0
	v_add_co_u32 v80, vcc_lo, v80, v103
	v_or3_b32 v19, v54, v86, 0
	v_add_co_ci_u32_e64 v81, null, 0, v81, vcc_lo
	v_cmp_gt_i32_e32 vcc_lo, 1, v84
	v_add_nc_u32_e32 v70, v70, v1
	global_store_dwordx4 v[82:83], v[17:20], off
	v_add_co_u32 v82, s11, v82, v9
	v_add_nc_u32_e32 v85, v85, v116
	v_add_co_ci_u32_e64 v83, null, v83, v10, s11
	s_or_b32 s22, vcc_lo, s22
	s_andn2_b32 exec_lo, exec_lo, s22
	s_cbranch_execz .LBB4_214
.LBB4_84:                               ;   Parent Loop BB4_44 Depth=1
                                        ; =>  This Inner Loop Header: Depth=2
	v_and_b32_e32 v19, -4, v80
	v_mov_b32_e32 v20, v81
	v_min_u32_e32 v54, 8, v84
	v_and_b32_e32 v86, 3, v80
	v_mov_b32_e32 v87, 0
	s_mov_b32 s11, exec_lo
	global_load_dword v17, v[19:20], off slc
	v_add_nc_u32_e32 v54, v86, v54
	v_mov_b32_e32 v86, 0
	v_cmpx_lt_u32_e32 4, v54
	s_cbranch_execz .LBB4_86
; %bb.85:                               ;   in Loop: Header=BB4_84 Depth=2
	global_load_dword v87, v[19:20], off offset:4 slc
.LBB4_86:                               ;   in Loop: Header=BB4_84 Depth=2
	s_or_b32 exec_lo, exec_lo, s11
	s_mov_b32 s11, exec_lo
	v_cmpx_lt_u64_e32 8, v[54:55]
	s_cbranch_execz .LBB4_88
; %bb.87:                               ;   in Loop: Header=BB4_84 Depth=2
	global_load_dword v86, v[19:20], off offset:8 slc
.LBB4_88:                               ;   in Loop: Header=BB4_84 Depth=2
	s_or_b32 exec_lo, exec_lo, s11
	s_waitcnt vmcnt(0)
	v_alignbit_b32 v54, v87, v17, v85
	s_mov_b32 s11, 0
	v_cmp_gt_i16_sdwa s23, v54, v40 src0_sel:BYTE_0 src1_sel:DWORD
	s_and_saveexec_b32 s24, s23
	s_xor_b32 s23, exec_lo, s24
	s_cbranch_execnz .LBB4_182
; %bb.89:                               ;   in Loop: Header=BB4_84 Depth=2
	s_or_saveexec_b32 s23, s23
	v_mov_b32_e32 v17, 0x7f800001
	s_xor_b32 exec_lo, exec_lo, s23
	s_cbranch_execnz .LBB4_185
.LBB4_90:                               ;   in Loop: Header=BB4_84 Depth=2
	s_or_b32 exec_lo, exec_lo, s23
	s_and_saveexec_b32 s23, s11
	s_cbranch_execz .LBB4_92
.LBB4_91:                               ;   in Loop: Header=BB4_84 Depth=2
	v_and_b32_e32 v17, 7, v54
	v_bfe_u32 v96, v54, 3, 4
	v_lshlrev_b32_e32 v97, 24, v54
	v_ffbh_u32_e32 v19, v17
	v_cmp_eq_u32_e32 vcc_lo, 0, v96
	v_min_u32_e32 v19, 32, v19
	v_subrev_nc_u32_e32 v20, 28, v19
	v_sub_nc_u32_e32 v19, 29, v19
	v_lshlrev_b32_e32 v20, v20, v54
	v_cndmask_b32_e32 v19, v96, v19, vcc_lo
	v_and_b32_e32 v20, 7, v20
	v_lshl_add_u32 v19, v19, 23, 0x3b800000
	v_cndmask_b32_e32 v17, v17, v20, vcc_lo
	v_and_b32_e32 v20, 0x80000000, v97
	v_lshlrev_b32_e32 v17, 20, v17
	v_or3_b32 v17, v20, v19, v17
.LBB4_92:                               ;   in Loop: Header=BB4_84 Depth=2
	s_or_b32 exec_lo, exec_lo, s23
	v_mul_f32_e32 v19, v0, v17
	v_and_b32_e32 v17, 0x7f800000, v19
	v_cmp_ne_u32_e32 vcc_lo, 0x7f800000, v17
	v_mov_b32_e32 v17, 0x80
	s_and_saveexec_b32 s23, vcc_lo
	s_cbranch_execz .LBB4_100
; %bb.93:                               ;   in Loop: Header=BB4_84 Depth=2
	v_mov_b32_e32 v17, 0
	s_mov_b32 s24, exec_lo
	v_cmpx_ne_u32_e32 0, v19
	s_cbranch_execz .LBB4_99
; %bb.94:                               ;   in Loop: Header=BB4_84 Depth=2
	v_bfe_u32 v17, v19, 23, 8
	v_and_b32_e32 v20, 0x7fffff, v19
	v_sub_nc_u32_e32 v96, 0x78, v17
	v_cmp_gt_u32_e32 vcc_lo, 0x79, v17
	v_or_b32_e32 v97, 0x800000, v20
	v_cndmask_b32_e32 v96, 0, v96, vcc_lo
	v_cmp_eq_u32_e32 vcc_lo, 0, v17
	v_add_nc_u32_e32 v17, 0xffffff89, v17
	v_cndmask_b32_e64 v96, v96, 0x77, vcc_lo
	v_cndmask_b32_e32 v20, v97, v20, vcc_lo
	v_cndmask_b32_e64 v17, v17, 0xffffff8a, vcc_lo
	v_lshl_add_u32 v97, 0x100000, v96, -1
	v_lshrrev_b32_e32 v56, v96, v20
	v_lshlrev_b32_e64 v58, v96, 0x80000
	v_add_nc_u32_e32 v96, v96, v17
	v_and_b32_e32 v20, v97, v20
	v_bfe_u32 v57, v56, 20, 1
	v_cmp_eq_u32_e64 s11, v20, v58
	v_add_nc_u32_e32 v97, -1, v57
	v_cndmask_b32_e64 v20, 0, v97, s11
	v_lshrrev_b32_e32 v97, 23, v56
	s_mov_b32 s11, exec_lo
	v_add_nc_u32_e32 v20, v20, v56
	v_xor_b32_e32 v97, 1, v97
	v_and_b32_e32 v17, 0xfffff, v20
	v_add_nc_u32_e32 v20, v17, v56
                                        ; implicit-def: $vgpr17
	v_cmpx_ne_u32_e64 v96, v97
	s_xor_b32 s11, exec_lo, s11
; %bb.95:                               ;   in Loop: Header=BB4_84 Depth=2
	v_cmp_lt_u32_e32 vcc_lo, 0xffffff, v20
	v_sub_nc_u32_e32 v17, v96, v97
	v_cndmask_b32_e64 v96, 0, 1, vcc_lo
	v_add_co_ci_u32_e64 v17, null, 0, v17, vcc_lo
	v_lshrrev_b32_e32 v20, v96, v20
; %bb.96:                               ;   in Loop: Header=BB4_84 Depth=2
	s_andn2_saveexec_b32 s11, s11
; %bb.97:                               ;   in Loop: Header=BB4_84 Depth=2
	v_bfe_u32 v17, v20, 23, 1
; %bb.98:                               ;   in Loop: Header=BB4_84 Depth=2
	s_or_b32 exec_lo, exec_lo, s11
	v_lshrrev_b32_e32 v20, 20, v20
	v_min_i32_e32 v96, 15, v17
	v_cmp_gt_i32_e32 vcc_lo, 16, v17
	v_and_b32_sdwa v19, v19, v41 dst_sel:DWORD dst_unused:UNUSED_PAD src0_sel:BYTE_3 src1_sel:DWORD
	v_lshlrev_b32_e32 v96, 3, v96
	v_cndmask_b32_e32 v20, 7, v20, vcc_lo
	v_and_b32_e32 v96, 0xf8, v96
	v_and_b32_e32 v97, 7, v20
	v_or_b32_e32 v17, v17, v20
	v_or3_b32 v19, v96, v19, v97
	v_cmp_ne_u32_e32 vcc_lo, 0, v17
	v_cndmask_b32_e32 v17, 0, v19, vcc_lo
.LBB4_99:                               ;   in Loop: Header=BB4_84 Depth=2
	s_or_b32 exec_lo, exec_lo, s24
.LBB4_100:                              ;   in Loop: Header=BB4_84 Depth=2
	s_or_b32 exec_lo, exec_lo, s23
	v_cmp_gt_i16_sdwa s23, v54, v40 src0_sel:BYTE_1 src1_sel:DWORD
	s_mov_b32 s11, 0
	s_and_saveexec_b32 s24, s23
	s_xor_b32 s23, exec_lo, s24
	s_cbranch_execnz .LBB4_186
; %bb.101:                              ;   in Loop: Header=BB4_84 Depth=2
	s_or_saveexec_b32 s23, s23
	v_mov_b32_e32 v19, 0x7f800001
	s_xor_b32 exec_lo, exec_lo, s23
	s_cbranch_execnz .LBB4_189
.LBB4_102:                              ;   in Loop: Header=BB4_84 Depth=2
	s_or_b32 exec_lo, exec_lo, s23
	s_and_saveexec_b32 s23, s11
	s_cbranch_execz .LBB4_104
.LBB4_103:                              ;   in Loop: Header=BB4_84 Depth=2
	v_and_b32_sdwa v19, v42, v54 dst_sel:DWORD dst_unused:UNUSED_PAD src0_sel:DWORD src1_sel:BYTE_1
	v_and_b32_e32 v20, 7, v19
	v_bfe_u32 v56, v19, 3, 4
	v_ffbh_u32_e32 v96, v20
	v_cmp_eq_u32_e32 vcc_lo, 0, v56
	v_min_u32_e32 v96, 32, v96
	v_subrev_nc_u32_e32 v97, 28, v96
	v_sub_nc_u32_e32 v96, 29, v96
	v_lshlrev_b32_e32 v19, v97, v19
	v_lshlrev_b32_sdwa v97, v43, v54 dst_sel:DWORD dst_unused:UNUSED_PAD src0_sel:DWORD src1_sel:BYTE_1
	v_cndmask_b32_e32 v96, v56, v96, vcc_lo
	v_and_b32_e32 v19, 7, v19
	v_lshl_add_u32 v96, v96, 23, 0x3b800000
	v_cndmask_b32_e32 v19, v20, v19, vcc_lo
	v_and_b32_e32 v20, 0x80000000, v97
	v_lshlrev_b32_e32 v19, 20, v19
	v_or3_b32 v19, v20, v96, v19
.LBB4_104:                              ;   in Loop: Header=BB4_84 Depth=2
	s_or_b32 exec_lo, exec_lo, s23
	v_mul_f32_e32 v20, v0, v19
	v_and_b32_e32 v19, 0x7f800000, v20
	v_cmp_ne_u32_e32 vcc_lo, 0x7f800000, v19
	v_mov_b32_e32 v19, 0x8000
	s_and_saveexec_b32 s23, vcc_lo
	s_cbranch_execz .LBB4_112
; %bb.105:                              ;   in Loop: Header=BB4_84 Depth=2
	v_mov_b32_e32 v19, 0
	s_mov_b32 s24, exec_lo
	v_cmpx_ne_u32_e32 0, v20
	s_cbranch_execz .LBB4_111
; %bb.106:                              ;   in Loop: Header=BB4_84 Depth=2
	v_bfe_u32 v19, v20, 23, 8
	v_and_b32_e32 v96, 0x7fffff, v20
	v_sub_nc_u32_e32 v97, 0x78, v19
	v_cmp_gt_u32_e32 vcc_lo, 0x79, v19
	v_or_b32_e32 v56, 0x800000, v96
	v_cndmask_b32_e32 v97, 0, v97, vcc_lo
	v_cmp_eq_u32_e32 vcc_lo, 0, v19
	v_add_nc_u32_e32 v19, 0xffffff89, v19
	v_cndmask_b32_e64 v97, v97, 0x77, vcc_lo
	v_cndmask_b32_e32 v96, v56, v96, vcc_lo
	v_cndmask_b32_e64 v19, v19, 0xffffff8a, vcc_lo
	v_lshl_add_u32 v56, 0x100000, v97, -1
	v_lshrrev_b32_e32 v57, v97, v96
	v_lshlrev_b32_e64 v59, v97, 0x80000
	v_add_nc_u32_e32 v97, v97, v19
	v_and_b32_e32 v96, v56, v96
	v_bfe_u32 v58, v57, 20, 1
	v_cmp_eq_u32_e64 s11, v96, v59
	v_add_nc_u32_e32 v56, -1, v58
	v_cndmask_b32_e64 v96, 0, v56, s11
	v_lshrrev_b32_e32 v56, 23, v57
	s_mov_b32 s11, exec_lo
	v_add_nc_u32_e32 v96, v96, v57
	v_xor_b32_e32 v56, 1, v56
	v_and_b32_e32 v19, 0xfffff, v96
	v_add_nc_u32_e32 v96, v19, v57
                                        ; implicit-def: $vgpr19
	v_cmpx_ne_u32_e64 v97, v56
	s_xor_b32 s11, exec_lo, s11
; %bb.107:                              ;   in Loop: Header=BB4_84 Depth=2
	v_cmp_lt_u32_e32 vcc_lo, 0xffffff, v96
	v_sub_nc_u32_e32 v19, v97, v56
	v_cndmask_b32_e64 v97, 0, 1, vcc_lo
	v_add_co_ci_u32_e64 v19, null, 0, v19, vcc_lo
	v_lshrrev_b32_e32 v96, v97, v96
; %bb.108:                              ;   in Loop: Header=BB4_84 Depth=2
	s_andn2_saveexec_b32 s11, s11
; %bb.109:                              ;   in Loop: Header=BB4_84 Depth=2
	v_bfe_u32 v19, v96, 23, 1
; %bb.110:                              ;   in Loop: Header=BB4_84 Depth=2
	s_or_b32 exec_lo, exec_lo, s11
	v_lshrrev_b32_e32 v96, 20, v96
	v_min_i32_e32 v97, 15, v19
	v_cmp_gt_i32_e32 vcc_lo, 16, v19
	v_and_b32_sdwa v20, v20, v41 dst_sel:DWORD dst_unused:UNUSED_PAD src0_sel:BYTE_3 src1_sel:DWORD
	v_lshlrev_b32_e32 v97, 3, v97
	v_cndmask_b32_e32 v96, 7, v96, vcc_lo
	v_and_b32_e32 v97, 0xf8, v97
	v_and_b32_e32 v56, 7, v96
	v_or_b32_e32 v19, v19, v96
	v_or3_b32 v20, v20, v97, v56
	v_cmp_ne_u32_e32 vcc_lo, 0, v19
	v_lshlrev_b32_e32 v20, 8, v20
	v_cndmask_b32_e32 v19, 0, v20, vcc_lo
.LBB4_111:                              ;   in Loop: Header=BB4_84 Depth=2
	s_or_b32 exec_lo, exec_lo, s24
.LBB4_112:                              ;   in Loop: Header=BB4_84 Depth=2
	s_or_b32 exec_lo, exec_lo, s23
	v_and_b32_sdwa v96, v54, v44 dst_sel:DWORD dst_unused:UNUSED_PAD src0_sel:WORD_1 src1_sel:DWORD
	s_mov_b32 s11, 0
	s_mov_b32 s23, exec_lo
	v_cmpx_lt_i16_e32 0x7f, v96
	s_xor_b32 s23, exec_lo, s23
	s_cbranch_execnz .LBB4_190
; %bb.113:                              ;   in Loop: Header=BB4_84 Depth=2
	s_or_saveexec_b32 s23, s23
	v_mov_b32_e32 v20, 0x7f800001
	s_xor_b32 exec_lo, exec_lo, s23
	s_cbranch_execnz .LBB4_193
.LBB4_114:                              ;   in Loop: Header=BB4_84 Depth=2
	s_or_b32 exec_lo, exec_lo, s23
	s_and_saveexec_b32 s23, s11
	s_cbranch_execz .LBB4_116
.LBB4_115:                              ;   in Loop: Header=BB4_84 Depth=2
	v_bfe_u32 v20, v54, 16, 3
	v_bfe_u32 v56, v54, 19, 4
	v_lshlrev_b32_e32 v57, 8, v54
	v_ffbh_u32_e32 v96, v20
	v_cmp_eq_u32_e32 vcc_lo, 0, v56
	v_min_u32_e32 v96, 32, v96
	v_subrev_nc_u32_e32 v97, 28, v96
	v_sub_nc_u32_e32 v96, 29, v96
	v_lshlrev_b32_sdwa v97, v97, v54 dst_sel:DWORD dst_unused:UNUSED_PAD src0_sel:DWORD src1_sel:WORD_1
	v_cndmask_b32_e32 v96, v56, v96, vcc_lo
	v_and_b32_e32 v97, 7, v97
	v_lshl_add_u32 v96, v96, 23, 0x3b800000
	v_cndmask_b32_e32 v20, v20, v97, vcc_lo
	v_and_b32_e32 v97, 0x80000000, v57
	v_lshlrev_b32_e32 v20, 20, v20
	v_or3_b32 v20, v97, v96, v20
.LBB4_116:                              ;   in Loop: Header=BB4_84 Depth=2
	s_or_b32 exec_lo, exec_lo, s23
	v_mul_f32_e32 v96, v0, v20
	v_and_b32_e32 v20, 0x7f800000, v96
	v_cmp_ne_u32_e32 vcc_lo, 0x7f800000, v20
	v_mov_b32_e32 v20, 0x80
	s_and_saveexec_b32 s23, vcc_lo
	s_cbranch_execz .LBB4_124
; %bb.117:                              ;   in Loop: Header=BB4_84 Depth=2
	v_mov_b32_e32 v20, 0
	s_mov_b32 s24, exec_lo
	v_cmpx_ne_u32_e32 0, v96
	s_cbranch_execz .LBB4_123
; %bb.118:                              ;   in Loop: Header=BB4_84 Depth=2
	v_bfe_u32 v20, v96, 23, 8
	v_and_b32_e32 v97, 0x7fffff, v96
	v_sub_nc_u32_e32 v56, 0x78, v20
	v_cmp_gt_u32_e32 vcc_lo, 0x79, v20
	v_or_b32_e32 v57, 0x800000, v97
	v_cndmask_b32_e32 v56, 0, v56, vcc_lo
	v_cmp_eq_u32_e32 vcc_lo, 0, v20
	v_add_nc_u32_e32 v20, 0xffffff89, v20
	v_cndmask_b32_e64 v56, v56, 0x77, vcc_lo
	v_cndmask_b32_e32 v97, v57, v97, vcc_lo
	v_cndmask_b32_e64 v20, v20, 0xffffff8a, vcc_lo
	v_lshl_add_u32 v57, 0x100000, v56, -1
	v_lshrrev_b32_e32 v58, v56, v97
	v_lshlrev_b32_e64 v60, v56, 0x80000
	v_add_nc_u32_e32 v56, v56, v20
	v_and_b32_e32 v97, v57, v97
	v_bfe_u32 v59, v58, 20, 1
	v_cmp_eq_u32_e64 s11, v97, v60
	v_add_nc_u32_e32 v57, -1, v59
	v_cndmask_b32_e64 v97, 0, v57, s11
	v_lshrrev_b32_e32 v57, 23, v58
	s_mov_b32 s11, exec_lo
	v_add_nc_u32_e32 v97, v97, v58
	v_xor_b32_e32 v57, 1, v57
	v_and_b32_e32 v20, 0xfffff, v97
	v_add_nc_u32_e32 v97, v20, v58
                                        ; implicit-def: $vgpr20
	v_cmpx_ne_u32_e64 v56, v57
	s_xor_b32 s11, exec_lo, s11
; %bb.119:                              ;   in Loop: Header=BB4_84 Depth=2
	v_cmp_lt_u32_e32 vcc_lo, 0xffffff, v97
	v_sub_nc_u32_e32 v20, v56, v57
	v_cndmask_b32_e64 v56, 0, 1, vcc_lo
	v_add_co_ci_u32_e64 v20, null, 0, v20, vcc_lo
	v_lshrrev_b32_e32 v97, v56, v97
; %bb.120:                              ;   in Loop: Header=BB4_84 Depth=2
	s_andn2_saveexec_b32 s11, s11
; %bb.121:                              ;   in Loop: Header=BB4_84 Depth=2
	v_bfe_u32 v20, v97, 23, 1
; %bb.122:                              ;   in Loop: Header=BB4_84 Depth=2
	s_or_b32 exec_lo, exec_lo, s11
	v_lshrrev_b32_e32 v97, 20, v97
	v_min_i32_e32 v56, 15, v20
	v_cmp_gt_i32_e32 vcc_lo, 16, v20
	v_and_b32_sdwa v96, v96, v41 dst_sel:DWORD dst_unused:UNUSED_PAD src0_sel:BYTE_3 src1_sel:DWORD
	v_lshlrev_b32_e32 v56, 3, v56
	v_cndmask_b32_e32 v97, 7, v97, vcc_lo
	v_and_b32_e32 v56, 0xf8, v56
	v_and_b32_e32 v57, 7, v97
	v_or_b32_e32 v20, v20, v97
	v_or3_b32 v96, v56, v96, v57
	v_cmp_ne_u32_e32 vcc_lo, 0, v20
	v_cndmask_b32_e32 v20, 0, v96, vcc_lo
.LBB4_123:                              ;   in Loop: Header=BB4_84 Depth=2
	s_or_b32 exec_lo, exec_lo, s24
.LBB4_124:                              ;   in Loop: Header=BB4_84 Depth=2
	s_or_b32 exec_lo, exec_lo, s23
	v_cmp_gt_i16_sdwa s23, v54, v40 src0_sel:BYTE_3 src1_sel:DWORD
	s_mov_b32 s11, 0
	s_and_saveexec_b32 s24, s23
	s_xor_b32 s23, exec_lo, s24
	s_cbranch_execnz .LBB4_194
; %bb.125:                              ;   in Loop: Header=BB4_84 Depth=2
	s_or_saveexec_b32 s23, s23
	v_mov_b32_e32 v96, 0x7f800001
	s_xor_b32 exec_lo, exec_lo, s23
	s_cbranch_execnz .LBB4_197
.LBB4_126:                              ;   in Loop: Header=BB4_84 Depth=2
	s_or_b32 exec_lo, exec_lo, s23
	s_and_saveexec_b32 s23, s11
	s_cbranch_execz .LBB4_128
.LBB4_127:                              ;   in Loop: Header=BB4_84 Depth=2
	v_bfe_u32 v96, v54, 24, 3
	v_bfe_u32 v57, v54, 27, 4
	v_ffbh_u32_e32 v97, v96
	v_cmp_eq_u32_e32 vcc_lo, 0, v57
	v_min_u32_e32 v97, 32, v97
	v_subrev_nc_u32_e32 v56, 28, v97
	v_sub_nc_u32_e32 v97, 29, v97
	v_lshlrev_b32_sdwa v56, v56, v54 dst_sel:DWORD dst_unused:UNUSED_PAD src0_sel:DWORD src1_sel:BYTE_3
	v_cndmask_b32_e32 v97, v57, v97, vcc_lo
	v_and_b32_e32 v54, 0x80000000, v54
	v_and_b32_e32 v56, 7, v56
	v_lshl_add_u32 v97, v97, 23, 0x3b800000
	v_cndmask_b32_e32 v96, v96, v56, vcc_lo
	v_lshlrev_b32_e32 v96, 20, v96
	v_or3_b32 v96, v54, v97, v96
.LBB4_128:                              ;   in Loop: Header=BB4_84 Depth=2
	s_or_b32 exec_lo, exec_lo, s23
	v_mul_f32_e32 v96, v0, v96
	v_and_b32_e32 v54, 0x7f800000, v96
	v_cmp_ne_u32_e32 vcc_lo, 0x7f800000, v54
	v_mov_b32_e32 v54, 0x8000
	s_and_saveexec_b32 s23, vcc_lo
	s_cbranch_execz .LBB4_136
; %bb.129:                              ;   in Loop: Header=BB4_84 Depth=2
	v_mov_b32_e32 v54, 0
	s_mov_b32 s24, exec_lo
	v_cmpx_ne_u32_e32 0, v96
	s_cbranch_execz .LBB4_135
; %bb.130:                              ;   in Loop: Header=BB4_84 Depth=2
	v_bfe_u32 v54, v96, 23, 8
	v_and_b32_e32 v97, 0x7fffff, v96
	v_sub_nc_u32_e32 v56, 0x78, v54
	v_cmp_gt_u32_e32 vcc_lo, 0x79, v54
	v_or_b32_e32 v57, 0x800000, v97
	v_cndmask_b32_e32 v56, 0, v56, vcc_lo
	v_cmp_eq_u32_e32 vcc_lo, 0, v54
	v_add_nc_u32_e32 v54, 0xffffff89, v54
	v_cndmask_b32_e64 v56, v56, 0x77, vcc_lo
	v_cndmask_b32_e32 v97, v57, v97, vcc_lo
	v_cndmask_b32_e64 v54, v54, 0xffffff8a, vcc_lo
	v_lshl_add_u32 v57, 0x100000, v56, -1
	v_lshrrev_b32_e32 v58, v56, v97
	v_lshlrev_b32_e64 v60, v56, 0x80000
	v_add_nc_u32_e32 v56, v56, v54
	v_and_b32_e32 v97, v57, v97
	v_bfe_u32 v59, v58, 20, 1
	v_cmp_eq_u32_e64 s11, v97, v60
	v_add_nc_u32_e32 v57, -1, v59
	v_cndmask_b32_e64 v97, 0, v57, s11
	v_lshrrev_b32_e32 v57, 23, v58
	s_mov_b32 s11, exec_lo
	v_add_nc_u32_e32 v97, v97, v58
	v_xor_b32_e32 v57, 1, v57
	v_and_b32_e32 v54, 0xfffff, v97
	v_add_nc_u32_e32 v97, v54, v58
                                        ; implicit-def: $vgpr54
	v_cmpx_ne_u32_e64 v56, v57
	s_xor_b32 s11, exec_lo, s11
; %bb.131:                              ;   in Loop: Header=BB4_84 Depth=2
	v_cmp_lt_u32_e32 vcc_lo, 0xffffff, v97
	v_sub_nc_u32_e32 v54, v56, v57
	v_cndmask_b32_e64 v56, 0, 1, vcc_lo
	v_add_co_ci_u32_e64 v54, null, 0, v54, vcc_lo
	v_lshrrev_b32_e32 v97, v56, v97
; %bb.132:                              ;   in Loop: Header=BB4_84 Depth=2
	s_andn2_saveexec_b32 s11, s11
; %bb.133:                              ;   in Loop: Header=BB4_84 Depth=2
	v_bfe_u32 v54, v97, 23, 1
; %bb.134:                              ;   in Loop: Header=BB4_84 Depth=2
	s_or_b32 exec_lo, exec_lo, s11
	v_lshrrev_b32_e32 v97, 20, v97
	v_min_i32_e32 v56, 15, v54
	v_cmp_gt_i32_e32 vcc_lo, 16, v54
	v_and_b32_sdwa v96, v96, v41 dst_sel:DWORD dst_unused:UNUSED_PAD src0_sel:BYTE_3 src1_sel:DWORD
	v_lshlrev_b32_e32 v56, 3, v56
	v_cndmask_b32_e32 v97, 7, v97, vcc_lo
	v_and_b32_e32 v56, 0xf8, v56
	v_and_b32_e32 v57, 7, v97
	v_or_b32_e32 v54, v54, v97
	v_or3_b32 v96, v96, v56, v57
	v_cmp_ne_u32_e32 vcc_lo, 0, v54
	v_lshlrev_b32_e32 v96, 8, v96
	v_cndmask_b32_e32 v54, 0, v96, vcc_lo
.LBB4_135:                              ;   in Loop: Header=BB4_84 Depth=2
	s_or_b32 exec_lo, exec_lo, s24
.LBB4_136:                              ;   in Loop: Header=BB4_84 Depth=2
	s_or_b32 exec_lo, exec_lo, s23
	v_alignbit_b32 v86, v86, v87, v85
	s_mov_b32 s11, 0
	v_cmp_gt_i16_sdwa s23, v86, v40 src0_sel:BYTE_0 src1_sel:DWORD
	s_and_saveexec_b32 s24, s23
	s_xor_b32 s23, exec_lo, s24
	s_cbranch_execnz .LBB4_198
; %bb.137:                              ;   in Loop: Header=BB4_84 Depth=2
	s_or_saveexec_b32 s23, s23
	v_mov_b32_e32 v87, 0x7f800001
	s_xor_b32 exec_lo, exec_lo, s23
	s_cbranch_execnz .LBB4_201
.LBB4_138:                              ;   in Loop: Header=BB4_84 Depth=2
	s_or_b32 exec_lo, exec_lo, s23
	s_and_saveexec_b32 s23, s11
	s_cbranch_execz .LBB4_140
.LBB4_139:                              ;   in Loop: Header=BB4_84 Depth=2
	v_and_b32_e32 v87, 7, v86
	v_bfe_u32 v56, v86, 3, 4
	v_lshlrev_b32_e32 v57, 24, v86
	v_ffbh_u32_e32 v96, v87
	v_cmp_eq_u32_e32 vcc_lo, 0, v56
	v_min_u32_e32 v96, 32, v96
	v_subrev_nc_u32_e32 v97, 28, v96
	v_sub_nc_u32_e32 v96, 29, v96
	v_lshlrev_b32_e32 v97, v97, v86
	v_cndmask_b32_e32 v96, v56, v96, vcc_lo
	v_and_b32_e32 v97, 7, v97
	v_lshl_add_u32 v96, v96, 23, 0x3b800000
	v_cndmask_b32_e32 v87, v87, v97, vcc_lo
	v_and_b32_e32 v97, 0x80000000, v57
	v_lshlrev_b32_e32 v87, 20, v87
	v_or3_b32 v87, v97, v96, v87
.LBB4_140:                              ;   in Loop: Header=BB4_84 Depth=2
	s_or_b32 exec_lo, exec_lo, s23
	v_mul_f32_e32 v96, v0, v87
	v_and_b32_e32 v87, 0x7f800000, v96
	v_cmp_ne_u32_e32 vcc_lo, 0x7f800000, v87
	v_mov_b32_e32 v87, 0x80
	s_and_saveexec_b32 s23, vcc_lo
	s_cbranch_execz .LBB4_148
; %bb.141:                              ;   in Loop: Header=BB4_84 Depth=2
	v_mov_b32_e32 v87, 0
	s_mov_b32 s24, exec_lo
	v_cmpx_ne_u32_e32 0, v96
	s_cbranch_execz .LBB4_147
; %bb.142:                              ;   in Loop: Header=BB4_84 Depth=2
	v_bfe_u32 v87, v96, 23, 8
	v_and_b32_e32 v97, 0x7fffff, v96
	v_sub_nc_u32_e32 v56, 0x78, v87
	v_cmp_gt_u32_e32 vcc_lo, 0x79, v87
	v_or_b32_e32 v57, 0x800000, v97
	v_cndmask_b32_e32 v56, 0, v56, vcc_lo
	v_cmp_eq_u32_e32 vcc_lo, 0, v87
	v_add_nc_u32_e32 v87, 0xffffff89, v87
	v_cndmask_b32_e64 v56, v56, 0x77, vcc_lo
	v_cndmask_b32_e32 v97, v57, v97, vcc_lo
	v_cndmask_b32_e64 v87, v87, 0xffffff8a, vcc_lo
	v_lshl_add_u32 v57, 0x100000, v56, -1
	v_lshrrev_b32_e32 v58, v56, v97
	v_lshlrev_b32_e64 v60, v56, 0x80000
	v_add_nc_u32_e32 v56, v56, v87
	v_and_b32_e32 v97, v57, v97
	v_bfe_u32 v59, v58, 20, 1
	v_cmp_eq_u32_e64 s11, v97, v60
	v_add_nc_u32_e32 v57, -1, v59
	v_cndmask_b32_e64 v97, 0, v57, s11
	v_lshrrev_b32_e32 v57, 23, v58
	s_mov_b32 s11, exec_lo
	v_add_nc_u32_e32 v97, v97, v58
	v_xor_b32_e32 v57, 1, v57
	v_and_b32_e32 v87, 0xfffff, v97
	v_add_nc_u32_e32 v97, v87, v58
                                        ; implicit-def: $vgpr87
	v_cmpx_ne_u32_e64 v56, v57
	s_xor_b32 s11, exec_lo, s11
; %bb.143:                              ;   in Loop: Header=BB4_84 Depth=2
	v_cmp_lt_u32_e32 vcc_lo, 0xffffff, v97
	v_sub_nc_u32_e32 v87, v56, v57
	v_cndmask_b32_e64 v56, 0, 1, vcc_lo
	v_add_co_ci_u32_e64 v87, null, 0, v87, vcc_lo
	v_lshrrev_b32_e32 v97, v56, v97
; %bb.144:                              ;   in Loop: Header=BB4_84 Depth=2
	s_andn2_saveexec_b32 s11, s11
; %bb.145:                              ;   in Loop: Header=BB4_84 Depth=2
	v_bfe_u32 v87, v97, 23, 1
; %bb.146:                              ;   in Loop: Header=BB4_84 Depth=2
	s_or_b32 exec_lo, exec_lo, s11
	v_lshrrev_b32_e32 v97, 20, v97
	v_min_i32_e32 v56, 15, v87
	v_cmp_gt_i32_e32 vcc_lo, 16, v87
	v_and_b32_sdwa v96, v96, v41 dst_sel:DWORD dst_unused:UNUSED_PAD src0_sel:BYTE_3 src1_sel:DWORD
	v_lshlrev_b32_e32 v56, 3, v56
	v_cndmask_b32_e32 v97, 7, v97, vcc_lo
	v_and_b32_e32 v56, 0xf8, v56
	v_and_b32_e32 v57, 7, v97
	v_or_b32_e32 v87, v87, v97
	v_or3_b32 v96, v56, v96, v57
	v_cmp_ne_u32_e32 vcc_lo, 0, v87
	v_cndmask_b32_e32 v87, 0, v96, vcc_lo
.LBB4_147:                              ;   in Loop: Header=BB4_84 Depth=2
	s_or_b32 exec_lo, exec_lo, s24
.LBB4_148:                              ;   in Loop: Header=BB4_84 Depth=2
	s_or_b32 exec_lo, exec_lo, s23
	v_cmp_gt_i16_sdwa s23, v86, v40 src0_sel:BYTE_1 src1_sel:DWORD
	s_mov_b32 s11, 0
	s_and_saveexec_b32 s24, s23
	s_xor_b32 s23, exec_lo, s24
	s_cbranch_execnz .LBB4_202
; %bb.149:                              ;   in Loop: Header=BB4_84 Depth=2
	s_or_saveexec_b32 s23, s23
	v_mov_b32_e32 v96, 0x7f800001
	s_xor_b32 exec_lo, exec_lo, s23
	s_cbranch_execnz .LBB4_205
.LBB4_150:                              ;   in Loop: Header=BB4_84 Depth=2
	s_or_b32 exec_lo, exec_lo, s23
	s_and_saveexec_b32 s23, s11
	s_cbranch_execz .LBB4_152
.LBB4_151:                              ;   in Loop: Header=BB4_84 Depth=2
	v_and_b32_sdwa v96, v42, v86 dst_sel:DWORD dst_unused:UNUSED_PAD src0_sel:DWORD src1_sel:BYTE_1
	v_and_b32_e32 v97, 7, v96
	v_bfe_u32 v58, v96, 3, 4
	v_ffbh_u32_e32 v56, v97
	v_cmp_eq_u32_e32 vcc_lo, 0, v58
	v_min_u32_e32 v56, 32, v56
	v_subrev_nc_u32_e32 v57, 28, v56
	v_sub_nc_u32_e32 v56, 29, v56
	v_lshlrev_b32_e32 v96, v57, v96
	v_lshlrev_b32_sdwa v57, v43, v86 dst_sel:DWORD dst_unused:UNUSED_PAD src0_sel:DWORD src1_sel:BYTE_1
	v_cndmask_b32_e32 v56, v58, v56, vcc_lo
	v_and_b32_e32 v96, 7, v96
	v_lshl_add_u32 v56, v56, 23, 0x3b800000
	v_cndmask_b32_e32 v96, v97, v96, vcc_lo
	v_and_b32_e32 v97, 0x80000000, v57
	v_lshlrev_b32_e32 v96, 20, v96
	v_or3_b32 v96, v97, v56, v96
.LBB4_152:                              ;   in Loop: Header=BB4_84 Depth=2
	s_or_b32 exec_lo, exec_lo, s23
	v_mul_f32_e32 v97, v0, v96
	v_and_b32_e32 v96, 0x7f800000, v97
	v_cmp_ne_u32_e32 vcc_lo, 0x7f800000, v96
	v_mov_b32_e32 v96, 0x8000
	s_and_saveexec_b32 s23, vcc_lo
	s_cbranch_execz .LBB4_160
; %bb.153:                              ;   in Loop: Header=BB4_84 Depth=2
	v_mov_b32_e32 v96, 0
	s_mov_b32 s24, exec_lo
	v_cmpx_ne_u32_e32 0, v97
	s_cbranch_execz .LBB4_159
; %bb.154:                              ;   in Loop: Header=BB4_84 Depth=2
	v_bfe_u32 v96, v97, 23, 8
	v_and_b32_e32 v56, 0x7fffff, v97
	v_sub_nc_u32_e32 v57, 0x78, v96
	v_cmp_gt_u32_e32 vcc_lo, 0x79, v96
	v_or_b32_e32 v58, 0x800000, v56
	v_cndmask_b32_e32 v57, 0, v57, vcc_lo
	v_cmp_eq_u32_e32 vcc_lo, 0, v96
	v_add_nc_u32_e32 v96, 0xffffff89, v96
	v_cndmask_b32_e64 v57, v57, 0x77, vcc_lo
	v_cndmask_b32_e32 v56, v58, v56, vcc_lo
	v_cndmask_b32_e64 v96, v96, 0xffffff8a, vcc_lo
	v_lshl_add_u32 v58, 0x100000, v57, -1
	v_lshrrev_b32_e32 v59, v57, v56
	v_lshlrev_b32_e64 v61, v57, 0x80000
	v_add_nc_u32_e32 v57, v57, v96
	v_and_b32_e32 v56, v58, v56
	v_bfe_u32 v60, v59, 20, 1
	v_cmp_eq_u32_e64 s11, v56, v61
	v_add_nc_u32_e32 v58, -1, v60
	v_cndmask_b32_e64 v56, 0, v58, s11
	v_lshrrev_b32_e32 v58, 23, v59
	s_mov_b32 s11, exec_lo
	v_add_nc_u32_e32 v56, v56, v59
	v_xor_b32_e32 v58, 1, v58
	v_and_b32_e32 v96, 0xfffff, v56
	v_add_nc_u32_e32 v56, v96, v59
                                        ; implicit-def: $vgpr96
	v_cmpx_ne_u32_e64 v57, v58
	s_xor_b32 s11, exec_lo, s11
; %bb.155:                              ;   in Loop: Header=BB4_84 Depth=2
	v_cmp_lt_u32_e32 vcc_lo, 0xffffff, v56
	v_sub_nc_u32_e32 v96, v57, v58
	v_cndmask_b32_e64 v57, 0, 1, vcc_lo
	v_add_co_ci_u32_e64 v96, null, 0, v96, vcc_lo
	v_lshrrev_b32_e32 v56, v57, v56
; %bb.156:                              ;   in Loop: Header=BB4_84 Depth=2
	s_andn2_saveexec_b32 s11, s11
; %bb.157:                              ;   in Loop: Header=BB4_84 Depth=2
	v_bfe_u32 v96, v56, 23, 1
; %bb.158:                              ;   in Loop: Header=BB4_84 Depth=2
	s_or_b32 exec_lo, exec_lo, s11
	v_lshrrev_b32_e32 v56, 20, v56
	v_min_i32_e32 v57, 15, v96
	v_cmp_gt_i32_e32 vcc_lo, 16, v96
	v_and_b32_sdwa v97, v97, v41 dst_sel:DWORD dst_unused:UNUSED_PAD src0_sel:BYTE_3 src1_sel:DWORD
	v_lshlrev_b32_e32 v57, 3, v57
	v_cndmask_b32_e32 v56, 7, v56, vcc_lo
	v_and_b32_e32 v57, 0xf8, v57
	v_and_b32_e32 v58, 7, v56
	v_or_b32_e32 v96, v96, v56
	v_or3_b32 v97, v97, v57, v58
	v_cmp_ne_u32_e32 vcc_lo, 0, v96
	v_lshlrev_b32_e32 v97, 8, v97
	v_cndmask_b32_e32 v96, 0, v97, vcc_lo
.LBB4_159:                              ;   in Loop: Header=BB4_84 Depth=2
	s_or_b32 exec_lo, exec_lo, s24
.LBB4_160:                              ;   in Loop: Header=BB4_84 Depth=2
	s_or_b32 exec_lo, exec_lo, s23
	v_and_b32_sdwa v56, v86, v44 dst_sel:DWORD dst_unused:UNUSED_PAD src0_sel:WORD_1 src1_sel:DWORD
	s_mov_b32 s11, 0
	s_mov_b32 s23, exec_lo
	v_cmpx_lt_i16_e32 0x7f, v56
	s_xor_b32 s23, exec_lo, s23
	s_cbranch_execnz .LBB4_206
; %bb.161:                              ;   in Loop: Header=BB4_84 Depth=2
	s_or_saveexec_b32 s23, s23
	v_mov_b32_e32 v97, 0x7f800001
	s_xor_b32 exec_lo, exec_lo, s23
	s_cbranch_execnz .LBB4_209
.LBB4_162:                              ;   in Loop: Header=BB4_84 Depth=2
	s_or_b32 exec_lo, exec_lo, s23
	s_and_saveexec_b32 s23, s11
	s_cbranch_execz .LBB4_164
.LBB4_163:                              ;   in Loop: Header=BB4_84 Depth=2
	v_bfe_u32 v97, v86, 16, 3
	v_bfe_u32 v58, v86, 19, 4
	v_lshlrev_b32_e32 v59, 8, v86
	v_ffbh_u32_e32 v56, v97
	v_cmp_eq_u32_e32 vcc_lo, 0, v58
	v_min_u32_e32 v56, 32, v56
	v_subrev_nc_u32_e32 v57, 28, v56
	v_sub_nc_u32_e32 v56, 29, v56
	v_lshlrev_b32_sdwa v57, v57, v86 dst_sel:DWORD dst_unused:UNUSED_PAD src0_sel:DWORD src1_sel:WORD_1
	v_cndmask_b32_e32 v56, v58, v56, vcc_lo
	v_and_b32_e32 v57, 7, v57
	v_lshl_add_u32 v56, v56, 23, 0x3b800000
	v_cndmask_b32_e32 v97, v97, v57, vcc_lo
	v_and_b32_e32 v57, 0x80000000, v59
	v_lshlrev_b32_e32 v97, 20, v97
	v_or3_b32 v97, v57, v56, v97
.LBB4_164:                              ;   in Loop: Header=BB4_84 Depth=2
	s_or_b32 exec_lo, exec_lo, s23
	v_mul_f32_e32 v56, v0, v97
	v_and_b32_e32 v97, 0x7f800000, v56
	v_cmp_ne_u32_e32 vcc_lo, 0x7f800000, v97
	v_mov_b32_e32 v97, 0x80
	s_and_saveexec_b32 s23, vcc_lo
	s_cbranch_execz .LBB4_172
; %bb.165:                              ;   in Loop: Header=BB4_84 Depth=2
	v_mov_b32_e32 v97, 0
	s_mov_b32 s24, exec_lo
	v_cmpx_ne_u32_e32 0, v56
	s_cbranch_execz .LBB4_171
; %bb.166:                              ;   in Loop: Header=BB4_84 Depth=2
	v_bfe_u32 v97, v56, 23, 8
	v_and_b32_e32 v57, 0x7fffff, v56
	v_sub_nc_u32_e32 v58, 0x78, v97
	v_cmp_gt_u32_e32 vcc_lo, 0x79, v97
	v_or_b32_e32 v59, 0x800000, v57
	v_cndmask_b32_e32 v58, 0, v58, vcc_lo
	v_cmp_eq_u32_e32 vcc_lo, 0, v97
	v_add_nc_u32_e32 v97, 0xffffff89, v97
	v_cndmask_b32_e64 v58, v58, 0x77, vcc_lo
	v_cndmask_b32_e32 v57, v59, v57, vcc_lo
	v_cndmask_b32_e64 v97, v97, 0xffffff8a, vcc_lo
	v_lshl_add_u32 v59, 0x100000, v58, -1
	v_lshrrev_b32_e32 v60, v58, v57
	v_lshlrev_b32_e64 v62, v58, 0x80000
	v_add_nc_u32_e32 v58, v58, v97
	v_and_b32_e32 v57, v59, v57
	v_bfe_u32 v61, v60, 20, 1
	v_cmp_eq_u32_e64 s11, v57, v62
	v_add_nc_u32_e32 v59, -1, v61
	v_cndmask_b32_e64 v57, 0, v59, s11
	v_lshrrev_b32_e32 v59, 23, v60
	s_mov_b32 s11, exec_lo
	v_add_nc_u32_e32 v57, v57, v60
	v_xor_b32_e32 v59, 1, v59
	v_and_b32_e32 v97, 0xfffff, v57
	v_add_nc_u32_e32 v57, v97, v60
                                        ; implicit-def: $vgpr97
	v_cmpx_ne_u32_e64 v58, v59
	s_xor_b32 s11, exec_lo, s11
; %bb.167:                              ;   in Loop: Header=BB4_84 Depth=2
	v_cmp_lt_u32_e32 vcc_lo, 0xffffff, v57
	v_sub_nc_u32_e32 v97, v58, v59
	v_cndmask_b32_e64 v58, 0, 1, vcc_lo
	v_add_co_ci_u32_e64 v97, null, 0, v97, vcc_lo
	v_lshrrev_b32_e32 v57, v58, v57
; %bb.168:                              ;   in Loop: Header=BB4_84 Depth=2
	s_andn2_saveexec_b32 s11, s11
; %bb.169:                              ;   in Loop: Header=BB4_84 Depth=2
	v_bfe_u32 v97, v57, 23, 1
; %bb.170:                              ;   in Loop: Header=BB4_84 Depth=2
	s_or_b32 exec_lo, exec_lo, s11
	v_lshrrev_b32_e32 v57, 20, v57
	v_min_i32_e32 v58, 15, v97
	v_cmp_gt_i32_e32 vcc_lo, 16, v97
	v_and_b32_sdwa v56, v56, v41 dst_sel:DWORD dst_unused:UNUSED_PAD src0_sel:BYTE_3 src1_sel:DWORD
	v_lshlrev_b32_e32 v58, 3, v58
	v_cndmask_b32_e32 v57, 7, v57, vcc_lo
	v_and_b32_e32 v58, 0xf8, v58
	v_and_b32_e32 v59, 7, v57
	v_or_b32_e32 v97, v97, v57
	v_or3_b32 v56, v58, v56, v59
	v_cmp_ne_u32_e32 vcc_lo, 0, v97
	v_cndmask_b32_e32 v97, 0, v56, vcc_lo
.LBB4_171:                              ;   in Loop: Header=BB4_84 Depth=2
	s_or_b32 exec_lo, exec_lo, s24
.LBB4_172:                              ;   in Loop: Header=BB4_84 Depth=2
	s_or_b32 exec_lo, exec_lo, s23
	v_cmp_gt_i16_sdwa s23, v86, v40 src0_sel:BYTE_3 src1_sel:DWORD
	s_mov_b32 s11, 0
	s_and_saveexec_b32 s24, s23
	s_xor_b32 s23, exec_lo, s24
	s_cbranch_execnz .LBB4_210
; %bb.173:                              ;   in Loop: Header=BB4_84 Depth=2
	s_or_saveexec_b32 s23, s23
	v_mov_b32_e32 v56, 0x7f800001
	s_xor_b32 exec_lo, exec_lo, s23
	s_cbranch_execnz .LBB4_213
.LBB4_174:                              ;   in Loop: Header=BB4_84 Depth=2
	s_or_b32 exec_lo, exec_lo, s23
	s_and_saveexec_b32 s23, s11
	s_cbranch_execz .LBB4_176
.LBB4_175:                              ;   in Loop: Header=BB4_84 Depth=2
	v_bfe_u32 v56, v86, 24, 3
	v_bfe_u32 v59, v86, 27, 4
	v_ffbh_u32_e32 v57, v56
	v_cmp_eq_u32_e32 vcc_lo, 0, v59
	v_min_u32_e32 v57, 32, v57
	v_subrev_nc_u32_e32 v58, 28, v57
	v_sub_nc_u32_e32 v57, 29, v57
	v_lshlrev_b32_sdwa v58, v58, v86 dst_sel:DWORD dst_unused:UNUSED_PAD src0_sel:DWORD src1_sel:BYTE_3
	v_cndmask_b32_e32 v57, v59, v57, vcc_lo
	v_and_b32_e32 v86, 0x80000000, v86
	v_and_b32_e32 v58, 7, v58
	v_lshl_add_u32 v57, v57, 23, 0x3b800000
	v_cndmask_b32_e32 v56, v56, v58, vcc_lo
	v_lshlrev_b32_e32 v56, 20, v56
	v_or3_b32 v56, v86, v57, v56
.LBB4_176:                              ;   in Loop: Header=BB4_84 Depth=2
	s_or_b32 exec_lo, exec_lo, s23
	v_mul_f32_e32 v86, v0, v56
	v_and_b32_e32 v56, 0x7f800000, v86
	v_cmp_ne_u32_e32 vcc_lo, 0x7f800000, v56
	v_mov_b32_e32 v56, 0x8000
	s_and_saveexec_b32 s23, vcc_lo
	s_cbranch_execz .LBB4_83
; %bb.177:                              ;   in Loop: Header=BB4_84 Depth=2
	v_mov_b32_e32 v56, 0
	s_mov_b32 s24, exec_lo
	v_cmpx_ne_u32_e32 0, v86
	s_cbranch_execz .LBB4_82
; %bb.178:                              ;   in Loop: Header=BB4_84 Depth=2
	v_bfe_u32 v56, v86, 23, 8
	v_and_b32_e32 v57, 0x7fffff, v86
	v_sub_nc_u32_e32 v58, 0x78, v56
	v_cmp_gt_u32_e32 vcc_lo, 0x79, v56
	v_or_b32_e32 v59, 0x800000, v57
	v_cndmask_b32_e32 v58, 0, v58, vcc_lo
	v_cmp_eq_u32_e32 vcc_lo, 0, v56
	v_add_nc_u32_e32 v56, 0xffffff89, v56
	v_cndmask_b32_e64 v58, v58, 0x77, vcc_lo
	v_cndmask_b32_e32 v57, v59, v57, vcc_lo
	v_cndmask_b32_e64 v56, v56, 0xffffff8a, vcc_lo
	v_lshl_add_u32 v59, 0x100000, v58, -1
	v_lshrrev_b32_e32 v60, v58, v57
	v_lshlrev_b32_e64 v62, v58, 0x80000
	v_add_nc_u32_e32 v58, v58, v56
	v_and_b32_e32 v57, v59, v57
	v_bfe_u32 v61, v60, 20, 1
	v_cmp_eq_u32_e64 s11, v57, v62
	v_add_nc_u32_e32 v59, -1, v61
	v_cndmask_b32_e64 v57, 0, v59, s11
	v_lshrrev_b32_e32 v59, 23, v60
	s_mov_b32 s11, exec_lo
	v_add_nc_u32_e32 v57, v57, v60
	v_xor_b32_e32 v59, 1, v59
	v_and_b32_e32 v56, 0xfffff, v57
	v_add_nc_u32_e32 v57, v56, v60
                                        ; implicit-def: $vgpr56
	v_cmpx_ne_u32_e64 v58, v59
	s_xor_b32 s11, exec_lo, s11
; %bb.179:                              ;   in Loop: Header=BB4_84 Depth=2
	v_cmp_lt_u32_e32 vcc_lo, 0xffffff, v57
	v_sub_nc_u32_e32 v56, v58, v59
	v_cndmask_b32_e64 v58, 0, 1, vcc_lo
	v_add_co_ci_u32_e64 v56, null, 0, v56, vcc_lo
	v_lshrrev_b32_e32 v57, v58, v57
; %bb.180:                              ;   in Loop: Header=BB4_84 Depth=2
	s_andn2_saveexec_b32 s11, s11
	s_cbranch_execz .LBB4_81
; %bb.181:                              ;   in Loop: Header=BB4_84 Depth=2
	v_bfe_u32 v56, v57, 23, 1
	s_branch .LBB4_81
.LBB4_182:                              ;   in Loop: Header=BB4_84 Depth=2
	v_cmp_eq_u16_sdwa s25, v54, v41 src0_sel:BYTE_0 src1_sel:DWORD
	s_mov_b32 s11, -1
	s_and_saveexec_b32 s24, s25
; %bb.183:                              ;   in Loop: Header=BB4_84 Depth=2
	s_xor_b32 s11, exec_lo, -1
; %bb.184:                              ;   in Loop: Header=BB4_84 Depth=2
	s_or_b32 exec_lo, exec_lo, s24
	s_and_b32 s11, s11, exec_lo
	s_or_saveexec_b32 s23, s23
	v_mov_b32_e32 v17, 0x7f800001
	s_xor_b32 exec_lo, exec_lo, s23
	s_cbranch_execz .LBB4_90
.LBB4_185:                              ;   in Loop: Header=BB4_84 Depth=2
	v_cmp_ne_u16_sdwa s24, v54, v55 src0_sel:BYTE_0 src1_sel:DWORD
	v_mov_b32_e32 v17, 0
	s_andn2_b32 s11, s11, exec_lo
	s_and_b32 s24, s24, exec_lo
	s_or_b32 s11, s11, s24
	s_or_b32 exec_lo, exec_lo, s23
	s_and_saveexec_b32 s23, s11
	s_cbranch_execnz .LBB4_91
	s_branch .LBB4_92
.LBB4_186:                              ;   in Loop: Header=BB4_84 Depth=2
	v_cmp_eq_u16_sdwa s25, v54, v41 src0_sel:BYTE_1 src1_sel:DWORD
	s_mov_b32 s11, -1
	s_and_saveexec_b32 s24, s25
; %bb.187:                              ;   in Loop: Header=BB4_84 Depth=2
	s_xor_b32 s11, exec_lo, -1
; %bb.188:                              ;   in Loop: Header=BB4_84 Depth=2
	s_or_b32 exec_lo, exec_lo, s24
	s_and_b32 s11, s11, exec_lo
	s_or_saveexec_b32 s23, s23
	v_mov_b32_e32 v19, 0x7f800001
	s_xor_b32 exec_lo, exec_lo, s23
	s_cbranch_execz .LBB4_102
.LBB4_189:                              ;   in Loop: Header=BB4_84 Depth=2
	v_cmp_ne_u16_sdwa s24, v54, v55 src0_sel:BYTE_1 src1_sel:DWORD
	v_mov_b32_e32 v19, 0
	s_andn2_b32 s11, s11, exec_lo
	s_and_b32 s24, s24, exec_lo
	s_or_b32 s11, s11, s24
	s_or_b32 exec_lo, exec_lo, s23
	s_and_saveexec_b32 s23, s11
	s_cbranch_execnz .LBB4_103
	s_branch .LBB4_104
.LBB4_190:                              ;   in Loop: Header=BB4_84 Depth=2
	s_mov_b32 s11, -1
	s_mov_b32 s24, exec_lo
	v_cmpx_eq_u16_e32 0x80, v96
; %bb.191:                              ;   in Loop: Header=BB4_84 Depth=2
	s_xor_b32 s11, exec_lo, -1
; %bb.192:                              ;   in Loop: Header=BB4_84 Depth=2
	s_or_b32 exec_lo, exec_lo, s24
	s_and_b32 s11, s11, exec_lo
                                        ; implicit-def: $vgpr96
	s_or_saveexec_b32 s23, s23
	v_mov_b32_e32 v20, 0x7f800001
	s_xor_b32 exec_lo, exec_lo, s23
	s_cbranch_execz .LBB4_114
.LBB4_193:                              ;   in Loop: Header=BB4_84 Depth=2
	v_cmp_ne_u16_e32 vcc_lo, 0, v96
	v_mov_b32_e32 v20, 0
	s_andn2_b32 s11, s11, exec_lo
	s_and_b32 s24, vcc_lo, exec_lo
	s_or_b32 s11, s11, s24
	s_or_b32 exec_lo, exec_lo, s23
	s_and_saveexec_b32 s23, s11
	s_cbranch_execnz .LBB4_115
	s_branch .LBB4_116
.LBB4_194:                              ;   in Loop: Header=BB4_84 Depth=2
	v_cmp_eq_u16_sdwa s25, v54, v41 src0_sel:BYTE_3 src1_sel:DWORD
	s_mov_b32 s11, -1
	s_and_saveexec_b32 s24, s25
; %bb.195:                              ;   in Loop: Header=BB4_84 Depth=2
	s_xor_b32 s11, exec_lo, -1
; %bb.196:                              ;   in Loop: Header=BB4_84 Depth=2
	s_or_b32 exec_lo, exec_lo, s24
	s_and_b32 s11, s11, exec_lo
	s_or_saveexec_b32 s23, s23
	v_mov_b32_e32 v96, 0x7f800001
	s_xor_b32 exec_lo, exec_lo, s23
	s_cbranch_execz .LBB4_126
.LBB4_197:                              ;   in Loop: Header=BB4_84 Depth=2
	v_cmp_ne_u16_sdwa s24, v54, v55 src0_sel:BYTE_3 src1_sel:DWORD
	v_mov_b32_e32 v96, 0
	s_andn2_b32 s11, s11, exec_lo
	s_and_b32 s24, s24, exec_lo
	s_or_b32 s11, s11, s24
	s_or_b32 exec_lo, exec_lo, s23
	s_and_saveexec_b32 s23, s11
	s_cbranch_execnz .LBB4_127
	s_branch .LBB4_128
.LBB4_198:                              ;   in Loop: Header=BB4_84 Depth=2
	v_cmp_eq_u16_sdwa s25, v86, v41 src0_sel:BYTE_0 src1_sel:DWORD
	s_mov_b32 s11, -1
	s_and_saveexec_b32 s24, s25
; %bb.199:                              ;   in Loop: Header=BB4_84 Depth=2
	s_xor_b32 s11, exec_lo, -1
; %bb.200:                              ;   in Loop: Header=BB4_84 Depth=2
	s_or_b32 exec_lo, exec_lo, s24
	s_and_b32 s11, s11, exec_lo
	s_or_saveexec_b32 s23, s23
	v_mov_b32_e32 v87, 0x7f800001
	s_xor_b32 exec_lo, exec_lo, s23
	s_cbranch_execz .LBB4_138
.LBB4_201:                              ;   in Loop: Header=BB4_84 Depth=2
	v_cmp_ne_u16_sdwa s24, v86, v55 src0_sel:BYTE_0 src1_sel:DWORD
	v_mov_b32_e32 v87, 0
	s_andn2_b32 s11, s11, exec_lo
	s_and_b32 s24, s24, exec_lo
	s_or_b32 s11, s11, s24
	s_or_b32 exec_lo, exec_lo, s23
	s_and_saveexec_b32 s23, s11
	s_cbranch_execnz .LBB4_139
	s_branch .LBB4_140
.LBB4_202:                              ;   in Loop: Header=BB4_84 Depth=2
	v_cmp_eq_u16_sdwa s25, v86, v41 src0_sel:BYTE_1 src1_sel:DWORD
	s_mov_b32 s11, -1
	s_and_saveexec_b32 s24, s25
; %bb.203:                              ;   in Loop: Header=BB4_84 Depth=2
	s_xor_b32 s11, exec_lo, -1
; %bb.204:                              ;   in Loop: Header=BB4_84 Depth=2
	s_or_b32 exec_lo, exec_lo, s24
	s_and_b32 s11, s11, exec_lo
	s_or_saveexec_b32 s23, s23
	v_mov_b32_e32 v96, 0x7f800001
	s_xor_b32 exec_lo, exec_lo, s23
	s_cbranch_execz .LBB4_150
.LBB4_205:                              ;   in Loop: Header=BB4_84 Depth=2
	v_cmp_ne_u16_sdwa s24, v86, v55 src0_sel:BYTE_1 src1_sel:DWORD
	v_mov_b32_e32 v96, 0
	s_andn2_b32 s11, s11, exec_lo
	s_and_b32 s24, s24, exec_lo
	s_or_b32 s11, s11, s24
	s_or_b32 exec_lo, exec_lo, s23
	s_and_saveexec_b32 s23, s11
	s_cbranch_execnz .LBB4_151
	s_branch .LBB4_152
.LBB4_206:                              ;   in Loop: Header=BB4_84 Depth=2
	s_mov_b32 s11, -1
	s_mov_b32 s24, exec_lo
	v_cmpx_eq_u16_e32 0x80, v56
; %bb.207:                              ;   in Loop: Header=BB4_84 Depth=2
	s_xor_b32 s11, exec_lo, -1
; %bb.208:                              ;   in Loop: Header=BB4_84 Depth=2
	s_or_b32 exec_lo, exec_lo, s24
	s_and_b32 s11, s11, exec_lo
                                        ; implicit-def: $vgpr56
	s_or_saveexec_b32 s23, s23
	v_mov_b32_e32 v97, 0x7f800001
	s_xor_b32 exec_lo, exec_lo, s23
	s_cbranch_execz .LBB4_162
.LBB4_209:                              ;   in Loop: Header=BB4_84 Depth=2
	v_cmp_ne_u16_e32 vcc_lo, 0, v56
	v_mov_b32_e32 v97, 0
	s_andn2_b32 s11, s11, exec_lo
	s_and_b32 s24, vcc_lo, exec_lo
	s_or_b32 s11, s11, s24
	s_or_b32 exec_lo, exec_lo, s23
	s_and_saveexec_b32 s23, s11
	s_cbranch_execnz .LBB4_163
	s_branch .LBB4_164
.LBB4_210:                              ;   in Loop: Header=BB4_84 Depth=2
	v_cmp_eq_u16_sdwa s25, v86, v41 src0_sel:BYTE_3 src1_sel:DWORD
	s_mov_b32 s11, -1
	s_and_saveexec_b32 s24, s25
; %bb.211:                              ;   in Loop: Header=BB4_84 Depth=2
	s_xor_b32 s11, exec_lo, -1
; %bb.212:                              ;   in Loop: Header=BB4_84 Depth=2
	s_or_b32 exec_lo, exec_lo, s24
	s_and_b32 s11, s11, exec_lo
	s_or_saveexec_b32 s23, s23
	v_mov_b32_e32 v56, 0x7f800001
	s_xor_b32 exec_lo, exec_lo, s23
	s_cbranch_execz .LBB4_174
.LBB4_213:                              ;   in Loop: Header=BB4_84 Depth=2
	v_cmp_ne_u16_sdwa s24, v86, v55 src0_sel:BYTE_3 src1_sel:DWORD
	v_mov_b32_e32 v56, 0
	s_andn2_b32 s11, s11, exec_lo
	s_and_b32 s24, s24, exec_lo
	s_or_b32 s11, s11, s24
	s_or_b32 exec_lo, exec_lo, s23
	s_and_saveexec_b32 s23, s11
	s_cbranch_execnz .LBB4_175
	s_branch .LBB4_176
.LBB4_214:                              ;   in Loop: Header=BB4_44 Depth=1
	s_or_b32 exec_lo, exec_lo, s22
.LBB4_215:                              ;   in Loop: Header=BB4_44 Depth=1
	s_or_b32 exec_lo, exec_lo, s12
	v_and_b32_e32 v54, 0x7ffffff8, v21
	v_cmp_gt_i32_e64 s11, s18, v70
	v_cmp_eq_u64_e32 vcc_lo, 0x7ffffff8, v[54:55]
	s_and_b32 s11, vcc_lo, s11
	s_and_saveexec_b32 s12, s11
	s_cbranch_execz .LBB4_218
; %bb.216:                              ;   in Loop: Header=BB4_44 Depth=1
	s_waitcnt vmcnt(0) lgkmcnt(0)
	v_mul_lo_u32 v19, v71, s18
	v_ashrrev_i32_e32 v71, 31, v70
	v_mov_b32_e32 v17, v55
	s_mov_b32 s22, 0
	v_lshlrev_b64 v[80:81], 4, v[70:71]
	v_ashrrev_i32_e32 v20, 31, v19
	v_lshlrev_b64 v[19:20], 4, v[19:20]
	v_add_co_u32 v19, vcc_lo, v80, v19
	v_add_co_ci_u32_e64 v20, null, v81, v20, vcc_lo
	v_add_co_u32 v80, vcc_lo, v36, v19
	v_add_co_ci_u32_e64 v81, null, v37, v20, vcc_lo
.LBB4_217:                              ;   Parent Loop BB4_44 Depth=1
                                        ; =>  This Inner Loop Header: Depth=2
	v_mov_b32_e32 v19, v17
	v_add_nc_u32_e32 v70, v70, v1
	v_mov_b32_e32 v20, v18
	v_cmp_le_i32_e32 vcc_lo, s18, v70
	global_store_dwordx4 v[80:81], v[17:20], off
	v_add_co_u32 v80, s11, v80, v9
	v_add_co_ci_u32_e64 v81, null, v81, v10, s11
	s_or_b32 s22, vcc_lo, s22
	s_andn2_b32 exec_lo, exec_lo, s22
	s_cbranch_execnz .LBB4_217
.LBB4_218:                              ;   in Loop: Header=BB4_44 Depth=1
	s_or_b32 exec_lo, exec_lo, s12
	v_add_co_u32 v56, vcc_lo, v68, v25
	v_add_co_ci_u32_e64 v57, null, v69, v26, vcc_lo
	v_add_co_u32 v70, vcc_lo, v21, 1
	v_add_co_ci_u32_e64 v71, null, 0, v22, vcc_lo
	s_andn2_b32 vcc_lo, exec_lo, s21
	s_cbranch_vccnz .LBB4_620
; %bb.219:                              ;   in Loop: Header=BB4_44 Depth=1
	v_add_co_u32 v80, vcc_lo, v112, v56
	v_add_co_ci_u32_e64 v81, null, v113, v57, vcc_lo
	v_add_nc_u16 v58, v21, 1
	s_mov_b32 s22, 2
	s_branch .LBB4_221
.LBB4_220:                              ;   in Loop: Header=BB4_221 Depth=2
	s_or_b32 exec_lo, exec_lo, s12
	v_add_co_u32 v34, vcc_lo, v34, 1
	v_add_co_ci_u32_e64 v35, null, 0, v35, vcc_lo
	v_add_co_u32 v70, vcc_lo, v70, 1
	v_add_co_ci_u32_e64 v71, null, 0, v71, vcc_lo
	v_add_nc_u16 v58, v58, 1
	s_add_i32 s22, s22, 1
	s_cmp_eq_u32 s22, s14
	s_cbranch_scc1 .LBB4_620
.LBB4_221:                              ;   Parent Loop BB4_44 Depth=1
                                        ; =>  This Loop Header: Depth=2
                                        ;       Child Loop BB4_226 Depth 3
                                        ;       Child Loop BB4_245 Depth 3
	;; [unrolled: 1-line block ×3, first 2 shown]
                                        ;         Child Loop BB4_275 Depth 4
                                        ;       Child Loop BB4_609 Depth 3
                                        ;       Child Loop BB4_262 Depth 3
	s_sub_i32 s12, s14, s22
	s_lshl_b64 s[24:25], s[12:13], 2
	v_add_co_u32 v17, vcc_lo, v23, s24
	v_add_co_ci_u32_e64 v18, null, s25, v24, vcc_lo
	s_waitcnt vmcnt(0) lgkmcnt(0)
	flat_load_dword v19, v[17:18]
	s_and_saveexec_b32 s12, s5
	s_cbranch_execz .LBB4_237
; %bb.222:                              ;   in Loop: Header=BB4_221 Depth=2
	v_add_co_u32 v17, vcc_lo, v15, 1
	v_add_co_ci_u32_e64 v18, null, 0, v16, vcc_lo
	v_add_co_u32 v20, vcc_lo, v52, 8
	v_add_co_ci_u32_e64 v21, null, 0, v53, vcc_lo
	s_mov_b32 s23, exec_lo
	v_cmpx_lt_u64_e64 v[20:21], v[17:18]
	s_cbranch_execz .LBB4_234
; %bb.223:                              ;   in Loop: Header=BB4_221 Depth=2
	s_mov_b32 s24, 0
	s_mov_b32 s28, 0
	v_cmp_eq_u32_e32 vcc_lo, 0, v45
                                        ; implicit-def: $sgpr25
                                        ; implicit-def: $sgpr26
                                        ; implicit-def: $sgpr27
	s_branch .LBB4_226
.LBB4_224:                              ;   in Loop: Header=BB4_226 Depth=3
	s_or_b32 exec_lo, exec_lo, s43
	s_andn2_b32 s11, s27, exec_lo
	s_and_b32 s27, s41, exec_lo
	s_andn2_b32 s26, s26, exec_lo
	s_and_b32 s40, s40, exec_lo
	s_or_b32 s27, s11, s27
	s_or_b32 s26, s26, s40
.LBB4_225:                              ;   in Loop: Header=BB4_226 Depth=3
	s_or_b32 exec_lo, exec_lo, s29
	s_and_b32 s11, exec_lo, s26
	s_or_b32 s24, s11, s24
	s_andn2_b32 s11, s25, exec_lo
	s_and_b32 s25, s27, exec_lo
	s_or_b32 s25, s11, s25
	s_andn2_b32 exec_lo, exec_lo, s24
	s_cbranch_execz .LBB4_231
.LBB4_226:                              ;   Parent Loop BB4_44 Depth=1
                                        ;     Parent Loop BB4_221 Depth=2
                                        ; =>    This Inner Loop Header: Depth=3
	s_sleep 1
	s_waitcnt vmcnt(0) lgkmcnt(0)
	flat_load_dwordx2 v[52:53], v[50:51] glc dlc
	v_mov_b32_e32 v45, 1
	s_or_b32 s27, s27, exec_lo
	s_or_b32 s26, s26, exec_lo
                                        ; implicit-def: $vgpr16
	s_and_saveexec_b32 s29, vcc_lo
	s_cbranch_execz .LBB4_225
; %bb.227:                              ;   in Loop: Header=BB4_226 Depth=3
	s_add_i32 s28, s28, 1
	s_mov_b32 s40, -1
	s_cmpk_lg_i32 s28, 0x2710
	s_mov_b32 s41, -1
	s_cselect_b32 s42, -1, 0
	s_cmpk_eq_i32 s28, 0x2710
                                        ; implicit-def: $vgpr16
	s_cbranch_scc1 .LBB4_229
; %bb.228:                              ;   in Loop: Header=BB4_226 Depth=3
	v_mov_b32_e32 v45, 1
	s_and_saveexec_b32 s43, s42
	s_cbranch_execz .LBB4_224
	s_branch .LBB4_230
.LBB4_229:                              ;   in Loop: Header=BB4_226 Depth=3
	s_trap 2
	ds_read_b64 v[20:21], v0
	s_andn2_b32 s28, s42, exec_lo
	s_mov_b32 s41, 0
	s_waitcnt vmcnt(0) lgkmcnt(0)
	s_waitcnt_vscnt null, 0x0
	flat_load_dword v16, v[20:21] glc dlc
	s_waitcnt vmcnt(0) lgkmcnt(0)
	buffer_gl1_inv
	buffer_gl0_inv
	v_cmp_eq_u32_e64 s11, 0, v16
	s_and_b32 s11, s11, exec_lo
	s_or_b32 s42, s28, s11
	s_mov_b32 s28, 0
	v_mov_b32_e32 v45, 1
	s_and_saveexec_b32 s43, s42
	s_cbranch_execz .LBB4_224
.LBB4_230:                              ;   in Loop: Header=BB4_226 Depth=3
	s_waitcnt vmcnt(0) lgkmcnt(0)
	v_add_co_u32 v20, s11, v52, 8
	v_add_co_ci_u32_e64 v21, null, 0, v53, s11
	v_mov_b32_e32 v45, 0
	s_or_b32 s41, s41, exec_lo
	v_cmp_ge_u64_e64 s11, v[20:21], v[17:18]
	s_orn2_b32 s40, s11, exec_lo
	s_branch .LBB4_224
.LBB4_231:                              ;   in Loop: Header=BB4_221 Depth=2
	s_or_b32 exec_lo, exec_lo, s24
	s_xor_b32 s11, s25, -1
	s_and_saveexec_b32 s24, s11
	s_xor_b32 s11, exec_lo, s24
	s_cbranch_execz .LBB4_233
; %bb.232:                              ;   in Loop: Header=BB4_221 Depth=2
	v_mov_b32_e32 v45, 1
	s_waitcnt vmcnt(0) lgkmcnt(0)
	s_waitcnt_vscnt null, 0x0
	ds_write_b32 v0, v16
	s_trap 2
.LBB4_233:                              ;   in Loop: Header=BB4_221 Depth=2
	s_or_b32 exec_lo, exec_lo, s11
.LBB4_234:                              ;   in Loop: Header=BB4_221 Depth=2
	s_or_b32 exec_lo, exec_lo, s23
	s_and_saveexec_b32 s11, s6
	s_cbranch_execz .LBB4_236
; %bb.235:                              ;   in Loop: Header=BB4_221 Depth=2
	v_and_b32_e32 v54, 0x7ffffff8, v15
	v_and_b32_e32 v16, 7, v15
	v_cmp_eq_u64_e32 vcc_lo, 0x7ffffff8, v[54:55]
	v_mad_u64_u32 v[20:21], null, v16, 24, v[13:14]
	v_cndmask_b32_e64 v15, v47, s15, vcc_lo
	v_ashrrev_i32_e32 v16, 31, v15
	flat_store_dwordx2 v[20:21], v[15:16] offset:8
	s_waitcnt_vscnt null, 0x0
.LBB4_236:                              ;   in Loop: Header=BB4_221 Depth=2
	s_or_b32 exec_lo, exec_lo, s11
	v_mov_b32_e32 v15, v17
	v_mov_b32_e32 v16, v18
.LBB4_237:                              ;   in Loop: Header=BB4_221 Depth=2
	s_or_b32 exec_lo, exec_lo, s12
	s_and_saveexec_b32 s11, s7
	s_cbranch_execz .LBB4_256
; %bb.238:                              ;   in Loop: Header=BB4_221 Depth=2
	s_and_saveexec_b32 s12, s19
	s_xor_b32 s12, exec_lo, s12
	s_cbranch_execz .LBB4_253
; %bb.239:                              ;   in Loop: Header=BB4_221 Depth=2
	s_and_saveexec_b32 s23, s8
	s_cbranch_execz .LBB4_252
; %bb.240:                              ;   in Loop: Header=BB4_221 Depth=2
	s_mov_b32 s25, exec_lo
	s_mov_b32 s24, exec_lo
	v_mbcnt_lo_u32_b32 v17, s25, 0
	s_waitcnt vmcnt(0) lgkmcnt(0)
	s_waitcnt_vscnt null, 0x0
	buffer_gl1_inv
	buffer_gl0_inv
	v_cmpx_eq_u32_e32 0, v17
	s_cbranch_execz .LBB4_242
; %bb.241:                              ;   in Loop: Header=BB4_221 Depth=2
	s_bcnt1_i32_b32 s25, s25
	v_mov_b32_e32 v54, s25
	ds_add_u64 v0, v[54:55]
	s_trap 2
.LBB4_242:                              ;   in Loop: Header=BB4_221 Depth=2
	s_or_b32 exec_lo, exec_lo, s24
	s_trap 2
	ds_read_b64 v[17:18], v0
	s_waitcnt lgkmcnt(0)
	buffer_gl0_inv
	v_add_co_u32 v2, vcc_lo, v2, v102
	v_add_co_ci_u32_e64 v3, null, 0, v3, vcc_lo
	s_mov_b32 s24, exec_lo
	v_cmpx_lt_u64_e64 v[17:18], v[2:3]
	s_cbranch_execz .LBB4_251
; %bb.243:                              ;   in Loop: Header=BB4_221 Depth=2
	s_mov_b32 s25, 0
	s_mov_b32 s28, 0
                                        ; implicit-def: $sgpr26
                                        ; implicit-def: $sgpr27
	s_inst_prefetch 0x1
	s_branch .LBB4_245
	.p2align	6
.LBB4_244:                              ;   in Loop: Header=BB4_245 Depth=3
	s_or_b32 exec_lo, exec_lo, s40
	s_and_b32 s29, exec_lo, s41
	s_or_b32 s25, s29, s25
	s_andn2_b32 s26, s26, exec_lo
	s_and_b32 s29, s27, exec_lo
	s_or_b32 s26, s26, s29
	s_andn2_b32 exec_lo, exec_lo, s25
	s_cbranch_execz .LBB4_249
.LBB4_245:                              ;   Parent Loop BB4_44 Depth=1
                                        ;     Parent Loop BB4_221 Depth=2
                                        ; =>    This Inner Loop Header: Depth=3
	s_add_i32 s28, s28, 1
	s_cmpk_lg_i32 s28, 0x2710
	s_cselect_b32 s29, -1, 0
	s_and_b32 vcc_lo, exec_lo, s29
	s_cbranch_vccz .LBB4_247
; %bb.246:                              ;   in Loop: Header=BB4_245 Depth=3
	s_mov_b32 s41, -1
	s_or_b32 s27, s27, exec_lo
	s_and_saveexec_b32 s40, s29
	s_cbranch_execz .LBB4_244
	s_branch .LBB4_248
	.p2align	6
.LBB4_247:                              ;   in Loop: Header=BB4_245 Depth=3
	s_trap 2
	ds_read_b64 v[17:18], v0
	s_andn2_b32 s29, s29, exec_lo
	s_mov_b32 s28, 0
	s_waitcnt lgkmcnt(0)
	flat_load_dword v17, v[17:18] glc dlc
	s_waitcnt vmcnt(0) lgkmcnt(0)
	buffer_gl1_inv
	buffer_gl0_inv
	v_cmp_eq_u32_e32 vcc_lo, 0, v17
	s_and_b32 s40, vcc_lo, exec_lo
	s_or_b32 s29, s29, s40
	s_mov_b32 s41, -1
	s_or_b32 s27, s27, exec_lo
	s_and_saveexec_b32 s40, s29
	s_cbranch_execz .LBB4_244
.LBB4_248:                              ;   in Loop: Header=BB4_245 Depth=3
	s_sleep 1
	s_trap 2
	ds_read_b64 v[17:18], v0
	s_waitcnt lgkmcnt(0)
	buffer_gl0_inv
	s_andn2_b32 s27, s27, exec_lo
	v_cmp_ge_u64_e32 vcc_lo, v[17:18], v[2:3]
	s_orn2_b32 s41, vcc_lo, exec_lo
	s_branch .LBB4_244
.LBB4_249:                              ;   in Loop: Header=BB4_221 Depth=2
	s_inst_prefetch 0x2
	s_or_b32 exec_lo, exec_lo, s25
	s_and_saveexec_b32 s25, s26
	s_xor_b32 s25, exec_lo, s25
	s_cbranch_execz .LBB4_251
; %bb.250:                              ;   in Loop: Header=BB4_221 Depth=2
	ds_write_b32 v0, v119
	s_trap 2
.LBB4_251:                              ;   in Loop: Header=BB4_221 Depth=2
	s_or_b32 exec_lo, exec_lo, s24
	;;#ASMSTART
	s_wakeup
	;;#ASMEND
.LBB4_252:                              ;   in Loop: Header=BB4_221 Depth=2
	s_or_b32 exec_lo, exec_lo, s23
.LBB4_253:                              ;   in Loop: Header=BB4_221 Depth=2
	s_andn2_saveexec_b32 s12, s12
	s_cbranch_execz .LBB4_255
; %bb.254:                              ;   in Loop: Header=BB4_221 Depth=2
	s_waitcnt vmcnt(0) lgkmcnt(0)
	s_waitcnt_vscnt null, 0x0
	buffer_gl1_inv
	buffer_gl0_inv
	s_barrier
.LBB4_255:                              ;   in Loop: Header=BB4_221 Depth=2
	s_or_b32 exec_lo, exec_lo, s12
.LBB4_256:                              ;   in Loop: Header=BB4_221 Depth=2
	s_or_b32 exec_lo, exec_lo, s11
	v_add_nc_u32_e32 v18, 1, v70
	v_mov_b32_e32 v82, v4
	s_and_saveexec_b32 s12, s10
	s_cbranch_execnz .LBB4_263
; %bb.257:                              ;   in Loop: Header=BB4_221 Depth=2
	s_or_b32 exec_lo, exec_lo, s12
	s_and_saveexec_b32 s11, s7
	s_cbranch_execnz .LBB4_602
.LBB4_258:                              ;   in Loop: Header=BB4_221 Depth=2
	s_or_b32 exec_lo, exec_lo, s11
	s_and_saveexec_b32 s11, s9
	s_cbranch_execz .LBB4_260
.LBB4_259:                              ;   in Loop: Header=BB4_221 Depth=2
	v_add_co_u32 v38, vcc_lo, v38, 1
	v_add_co_ci_u32_e64 v39, null, 0, v39, vcc_lo
	s_waitcnt vmcnt(0) lgkmcnt(0)
	s_waitcnt_vscnt null, 0x0
	flat_store_dwordx2 v[48:49], v[38:39]
.LBB4_260:                              ;   in Loop: Header=BB4_221 Depth=2
	s_or_b32 exec_lo, exec_lo, s11
	v_and_b32_e32 v54, 0x7ffffff8, v70
	v_cmp_gt_i32_e64 s11, s18, v82
	v_cmp_eq_u64_e32 vcc_lo, 0x7ffffff8, v[54:55]
	s_and_b32 s11, vcc_lo, s11
	s_and_saveexec_b32 s12, s11
	s_cbranch_execz .LBB4_220
; %bb.261:                              ;   in Loop: Header=BB4_221 Depth=2
	v_and_b32_e32 v17, 7, v58
	v_ashrrev_i32_e32 v83, 31, v82
	s_mov_b32 s23, 0
	s_waitcnt vmcnt(0) lgkmcnt(0)
	v_mul_lo_u32 v19, s18, v17
	v_lshlrev_b64 v[21:22], 4, v[82:83]
	v_mov_b32_e32 v17, v55
	v_ashrrev_i32_e32 v20, 31, v19
	v_lshlrev_b64 v[19:20], 4, v[19:20]
	v_add_co_u32 v19, vcc_lo, v21, v19
	v_add_co_ci_u32_e64 v20, null, v22, v20, vcc_lo
	v_add_co_u32 v21, vcc_lo, v36, v19
	v_add_co_ci_u32_e64 v22, null, v37, v20, vcc_lo
.LBB4_262:                              ;   Parent Loop BB4_44 Depth=1
                                        ;     Parent Loop BB4_221 Depth=2
                                        ; =>    This Inner Loop Header: Depth=3
	v_mov_b32_e32 v19, v17
	v_add_nc_u32_e32 v82, v82, v1
	v_mov_b32_e32 v20, v18
	v_cmp_le_i32_e32 vcc_lo, s18, v82
	global_store_dwordx4 v[21:22], v[17:20], off
	v_add_co_u32 v21, s11, v21, v9
	v_add_co_ci_u32_e64 v22, null, v22, v10, s11
	s_or_b32 s23, vcc_lo, s23
	s_andn2_b32 exec_lo, exec_lo, s23
	s_cbranch_execnz .LBB4_262
	s_branch .LBB4_220
.LBB4_263:                              ;   in Loop: Header=BB4_221 Depth=2
	v_and_b32_e32 v17, 7, v34
	v_and_b32_e32 v21, 7, v70
	s_waitcnt vmcnt(0) lgkmcnt(0)
	v_mad_u64_u32 v[84:85], null, v99, v19, v[80:81]
	v_mul_lo_u32 v22, v100, v19
	v_mul_lo_u32 v20, v17, s18
	v_ashrrev_i32_e32 v17, 31, v19
	v_mul_lo_u32 v82, v21, s18
	v_add_nc_u32_e32 v59, 1, v34
	v_mov_b32_e32 v60, v46
	s_mov_b32 s23, 0
	v_mul_lo_u32 v17, v99, v17
	v_ashrrev_i32_e32 v21, 31, v20
	v_ashrrev_i32_e32 v83, 31, v82
	v_lshlrev_b64 v[19:20], 4, v[20:21]
	v_add3_u32 v85, v22, v85, v17
	v_lshlrev_b64 v[21:22], 4, v[82:83]
	v_mov_b32_e32 v82, v4
	v_add_co_u32 v61, vcc_lo, v32, v19
	v_add_co_ci_u32_e64 v62, null, v33, v20, vcc_lo
	v_add_co_u32 v63, vcc_lo, v36, v21
	v_add_co_ci_u32_e64 v72, null, v37, v22, vcc_lo
	s_branch .LBB4_267
.LBB4_264:                              ;   in Loop: Header=BB4_267 Depth=3
	s_or_b32 exec_lo, exec_lo, s11
	v_lshrrev_b32_e32 v97, 20, v97
	v_min_i32_e32 v74, 15, v54
	v_cmp_gt_i32_e32 vcc_lo, 16, v54
	v_and_b32_sdwa v21, v21, v41 dst_sel:DWORD dst_unused:UNUSED_PAD src0_sel:BYTE_3 src1_sel:DWORD
	v_lshlrev_b32_e32 v74, 3, v74
	v_cndmask_b32_e32 v97, 7, v97, vcc_lo
	v_and_b32_e32 v74, 0xf8, v74
	v_and_b32_e32 v75, 7, v97
	v_or_b32_e32 v54, v54, v97
	v_or3_b32 v21, v21, v74, v75
	v_cmp_ne_u32_e32 vcc_lo, 0, v54
	v_lshlrev_b32_e32 v21, 8, v21
	v_cndmask_b32_e32 v54, 0, v21, vcc_lo
.LBB4_265:                              ;   in Loop: Header=BB4_267 Depth=3
	s_or_b32 exec_lo, exec_lo, s25
.LBB4_266:                              ;   in Loop: Header=BB4_267 Depth=3
	s_or_b32 exec_lo, exec_lo, s24
	v_sub_nc_u32_e32 v60, v60, v103
	v_add_co_u32 v84, vcc_lo, v84, v103
	v_or_b32_e32 v17, v83, v17
	v_or_b32_sdwa v19, v19, v96 dst_sel:WORD_1 dst_unused:UNUSED_PAD src0_sel:DWORD src1_sel:DWORD
	v_or_b32_e32 v83, v73, v22
	v_or_b32_sdwa v20, v54, v20 dst_sel:WORD_1 dst_unused:UNUSED_PAD src0_sel:DWORD src1_sel:DWORD
	v_add_co_ci_u32_e64 v85, null, 0, v85, vcc_lo
	v_add_co_u32 v21, vcc_lo, v63, v86
	v_add_co_ci_u32_e64 v22, null, v72, v87, vcc_lo
	v_cmp_gt_i32_e32 vcc_lo, 1, v60
	v_or3_b32 v17, v17, v19, 0
	v_or3_b32 v19, v83, v20, 0
	v_mov_b32_e32 v20, v18
	v_add_nc_u32_e32 v82, v82, v1
	s_or_b32 s23, vcc_lo, s23
	global_store_dwordx4 v[21:22], v[17:20], off
	s_andn2_b32 exec_lo, exec_lo, s23
	s_cbranch_execz .LBB4_601
.LBB4_267:                              ;   Parent Loop BB4_44 Depth=1
                                        ;     Parent Loop BB4_221 Depth=2
                                        ; =>    This Loop Header: Depth=3
                                        ;         Child Loop BB4_275 Depth 4
	v_and_b32_e32 v19, -4, v84
	v_mov_b32_e32 v20, v85
	v_min_u32_e32 v21, 8, v60
	v_and_b32_e32 v22, 3, v84
	v_mov_b32_e32 v74, 0
	v_mov_b32_e32 v75, 0
	global_load_dword v17, v[19:20], off slc
	s_mov_b32 s11, exec_lo
	v_add_nc_u32_e32 v54, v22, v21
	v_cmpx_lt_u32_e32 4, v54
	s_cbranch_execz .LBB4_269
; %bb.268:                              ;   in Loop: Header=BB4_267 Depth=3
	global_load_dword v75, v[19:20], off offset:4 slc
.LBB4_269:                              ;   in Loop: Header=BB4_267 Depth=3
	s_or_b32 exec_lo, exec_lo, s11
	s_mov_b32 s11, exec_lo
	v_cmpx_lt_u64_e32 8, v[54:55]
	s_cbranch_execz .LBB4_271
; %bb.270:                              ;   in Loop: Header=BB4_267 Depth=3
	global_load_dword v74, v[19:20], off offset:8 slc
.LBB4_271:                              ;   in Loop: Header=BB4_267 Depth=3
	s_or_b32 exec_lo, exec_lo, s11
	v_mov_b32_e32 v83, v55
	v_lshlrev_b64 v[86:87], 4, v[82:83]
	v_add_co_u32 v96, vcc_lo, v61, v86
	v_add_co_ci_u32_e64 v97, null, v62, v87, vcc_lo
	v_cmp_eq_u32_e32 vcc_lo, 0, v45
	v_mov_b32_e32 v45, 1
	global_load_dwordx4 v[19:22], v[96:97], off slc
	s_and_saveexec_b32 s24, vcc_lo
	s_cbranch_execz .LBB4_283
; %bb.272:                              ;   in Loop: Header=BB4_267 Depth=3
	s_waitcnt vmcnt(0)
	v_cmp_ne_u32_e32 vcc_lo, v59, v20
	v_cmp_ne_u32_e64 s11, v59, v22
	v_mov_b32_e32 v45, 0
	s_or_b32 s11, vcc_lo, s11
	s_and_saveexec_b32 s25, s11
	s_cbranch_execz .LBB4_282
; %bb.273:                              ;   in Loop: Header=BB4_267 Depth=3
	s_mov_b32 s29, 1
	s_mov_b32 s27, 0
                                        ; implicit-def: $sgpr26
                                        ; implicit-def: $sgpr28
	s_inst_prefetch 0x1
	s_branch .LBB4_275
	.p2align	6
.LBB4_274:                              ;   in Loop: Header=BB4_275 Depth=4
	s_or_b32 exec_lo, exec_lo, s41
	s_and_b32 s11, exec_lo, s11
	s_or_b32 s27, s11, s27
	s_andn2_b32 s11, s26, exec_lo
	s_and_b32 s26, s28, exec_lo
	s_or_b32 s26, s11, s26
	s_andn2_b32 exec_lo, exec_lo, s27
	s_cbranch_execz .LBB4_279
.LBB4_275:                              ;   Parent Loop BB4_44 Depth=1
                                        ;     Parent Loop BB4_221 Depth=2
                                        ;       Parent Loop BB4_267 Depth=3
                                        ; =>      This Inner Loop Header: Depth=4
	global_load_dwordx4 v[19:22], v[96:97], off slc
	s_add_i32 s29, s29, 1
	s_mov_b32 s11, -1
	s_cmpk_lg_i32 s29, 0x2710
	s_mov_b32 s40, -1
                                        ; implicit-def: $vgpr54
	s_cbranch_scc0 .LBB4_277
; %bb.276:                              ;   in Loop: Header=BB4_275 Depth=4
	s_or_b32 s28, s28, exec_lo
	s_and_saveexec_b32 s41, s40
	s_cbranch_execz .LBB4_274
	s_branch .LBB4_278
	.p2align	6
.LBB4_277:                              ;   in Loop: Header=BB4_275 Depth=4
	s_trap 2
	ds_read_b64 v[76:77], v0
	s_mov_b32 s29, 0
	s_waitcnt vmcnt(0) lgkmcnt(0)
	s_waitcnt_vscnt null, 0x0
	flat_load_dword v54, v[76:77] glc dlc
	s_waitcnt vmcnt(0) lgkmcnt(0)
	buffer_gl1_inv
	buffer_gl0_inv
	v_cmp_eq_u32_e32 vcc_lo, 0, v54
	s_orn2_b32 s40, vcc_lo, exec_lo
	s_or_b32 s28, s28, exec_lo
	s_and_saveexec_b32 s41, s40
	s_cbranch_execz .LBB4_274
.LBB4_278:                              ;   in Loop: Header=BB4_275 Depth=4
	s_waitcnt vmcnt(0)
	v_cmp_eq_u32_e32 vcc_lo, v59, v20
	v_cmp_eq_u32_e64 s11, v59, v22
	s_andn2_b32 s28, s28, exec_lo
	s_and_b32 s11, vcc_lo, s11
	s_orn2_b32 s11, s11, exec_lo
	s_branch .LBB4_274
.LBB4_279:                              ;   in Loop: Header=BB4_267 Depth=3
	s_inst_prefetch 0x2
	s_or_b32 exec_lo, exec_lo, s27
	v_mov_b32_e32 v45, 0
	s_and_saveexec_b32 s11, s26
	s_xor_b32 s11, exec_lo, s11
	s_cbranch_execz .LBB4_281
; %bb.280:                              ;   in Loop: Header=BB4_267 Depth=3
	v_mov_b32_e32 v45, 1
	s_waitcnt vmcnt(0)
	s_waitcnt_vscnt null, 0x0
	ds_write_b32 v0, v54
	s_trap 2
.LBB4_281:                              ;   in Loop: Header=BB4_267 Depth=3
	s_or_b32 exec_lo, exec_lo, s11
.LBB4_282:                              ;   in Loop: Header=BB4_267 Depth=3
	s_or_b32 exec_lo, exec_lo, s25
.LBB4_283:                              ;   in Loop: Header=BB4_267 Depth=3
	s_or_b32 exec_lo, exec_lo, s24
	s_waitcnt vmcnt(0)
	v_lshlrev_b32_e32 v20, 3, v84
	s_mov_b32 s11, 0
	v_alignbit_b32 v22, v75, v17, v20
	v_cmp_gt_i16_sdwa s24, v22, v40 src0_sel:BYTE_0 src1_sel:DWORD
	s_and_saveexec_b32 s25, s24
	s_xor_b32 s24, exec_lo, s25
	s_cbranch_execnz .LBB4_505
; %bb.284:                              ;   in Loop: Header=BB4_267 Depth=3
	s_or_saveexec_b32 s24, s24
	v_mov_b32_e32 v17, 0x7f800001
	s_xor_b32 exec_lo, exec_lo, s24
	s_cbranch_execnz .LBB4_508
.LBB4_285:                              ;   in Loop: Header=BB4_267 Depth=3
	s_or_b32 exec_lo, exec_lo, s24
	s_and_saveexec_b32 s24, s11
	s_cbranch_execz .LBB4_287
.LBB4_286:                              ;   in Loop: Header=BB4_267 Depth=3
	v_and_b32_e32 v17, 7, v22
	v_bfe_u32 v96, v22, 3, 4
	v_lshlrev_b32_e32 v97, 24, v22
	v_ffbh_u32_e32 v54, v17
	v_cmp_eq_u32_e32 vcc_lo, 0, v96
	v_min_u32_e32 v54, 32, v54
	v_subrev_nc_u32_e32 v83, 28, v54
	v_sub_nc_u32_e32 v54, 29, v54
	v_lshlrev_b32_e32 v83, v83, v22
	v_cndmask_b32_e32 v54, v96, v54, vcc_lo
	v_and_b32_e32 v83, 7, v83
	v_lshl_add_u32 v54, v54, 23, 0x3b800000
	v_cndmask_b32_e32 v17, v17, v83, vcc_lo
	v_and_b32_e32 v83, 0x80000000, v97
	v_lshlrev_b32_e32 v17, 20, v17
	v_or3_b32 v17, v83, v54, v17
.LBB4_287:                              ;   in Loop: Header=BB4_267 Depth=3
	s_or_b32 exec_lo, exec_lo, s24
	v_mul_f32_e32 v54, v0, v17
	v_and_b32_e32 v17, 0x7f800000, v54
	v_cmp_ne_u32_e32 vcc_lo, 0x7f800000, v17
	v_mov_b32_e32 v17, 0x80
	s_and_saveexec_b32 s24, vcc_lo
	s_cbranch_execz .LBB4_295
; %bb.288:                              ;   in Loop: Header=BB4_267 Depth=3
	v_mov_b32_e32 v17, 0
	s_mov_b32 s25, exec_lo
	v_cmpx_ne_u32_e32 0, v54
	s_cbranch_execz .LBB4_294
; %bb.289:                              ;   in Loop: Header=BB4_267 Depth=3
	v_bfe_u32 v17, v54, 23, 8
	v_and_b32_e32 v83, 0x7fffff, v54
	v_sub_nc_u32_e32 v96, 0x78, v17
	v_cmp_gt_u32_e32 vcc_lo, 0x79, v17
	v_or_b32_e32 v97, 0x800000, v83
	v_cndmask_b32_e32 v96, 0, v96, vcc_lo
	v_cmp_eq_u32_e32 vcc_lo, 0, v17
	v_add_nc_u32_e32 v17, 0xffffff89, v17
	v_cndmask_b32_e64 v96, v96, 0x77, vcc_lo
	v_cndmask_b32_e32 v83, v97, v83, vcc_lo
	v_cndmask_b32_e64 v17, v17, 0xffffff8a, vcc_lo
	v_lshl_add_u32 v97, 0x100000, v96, -1
	v_lshrrev_b32_e32 v73, v96, v83
	v_lshlrev_b32_e64 v77, v96, 0x80000
	v_add_nc_u32_e32 v96, v96, v17
	v_and_b32_e32 v83, v97, v83
	v_bfe_u32 v76, v73, 20, 1
	v_cmp_eq_u32_e64 s11, v83, v77
	v_add_nc_u32_e32 v97, -1, v76
	v_cndmask_b32_e64 v83, 0, v97, s11
	v_lshrrev_b32_e32 v97, 23, v73
	s_mov_b32 s11, exec_lo
	v_add_nc_u32_e32 v83, v83, v73
	v_xor_b32_e32 v97, 1, v97
	v_and_b32_e32 v17, 0xfffff, v83
	v_add_nc_u32_e32 v83, v17, v73
                                        ; implicit-def: $vgpr17
	v_cmpx_ne_u32_e64 v96, v97
	s_xor_b32 s11, exec_lo, s11
; %bb.290:                              ;   in Loop: Header=BB4_267 Depth=3
	v_cmp_lt_u32_e32 vcc_lo, 0xffffff, v83
	v_sub_nc_u32_e32 v17, v96, v97
	v_cndmask_b32_e64 v96, 0, 1, vcc_lo
	v_add_co_ci_u32_e64 v17, null, 0, v17, vcc_lo
	v_lshrrev_b32_e32 v83, v96, v83
; %bb.291:                              ;   in Loop: Header=BB4_267 Depth=3
	s_andn2_saveexec_b32 s11, s11
; %bb.292:                              ;   in Loop: Header=BB4_267 Depth=3
	v_bfe_u32 v17, v83, 23, 1
; %bb.293:                              ;   in Loop: Header=BB4_267 Depth=3
	s_or_b32 exec_lo, exec_lo, s11
	v_lshrrev_b32_e32 v83, 20, v83
	v_min_i32_e32 v96, 15, v17
	v_cmp_gt_i32_e32 vcc_lo, 16, v17
	v_and_b32_sdwa v54, v54, v41 dst_sel:DWORD dst_unused:UNUSED_PAD src0_sel:BYTE_3 src1_sel:DWORD
	v_lshlrev_b32_e32 v96, 3, v96
	v_cndmask_b32_e32 v83, 7, v83, vcc_lo
	v_and_b32_e32 v96, 0xf8, v96
	v_and_b32_e32 v97, 7, v83
	v_or_b32_e32 v17, v17, v83
	v_or3_b32 v54, v96, v54, v97
	v_cmp_ne_u32_e32 vcc_lo, 0, v17
	v_cndmask_b32_e32 v17, 0, v54, vcc_lo
.LBB4_294:                              ;   in Loop: Header=BB4_267 Depth=3
	s_or_b32 exec_lo, exec_lo, s25
.LBB4_295:                              ;   in Loop: Header=BB4_267 Depth=3
	s_or_b32 exec_lo, exec_lo, s24
	v_cmp_gt_i16_sdwa s24, v22, v40 src0_sel:BYTE_1 src1_sel:DWORD
	s_mov_b32 s11, 0
	s_and_saveexec_b32 s25, s24
	s_xor_b32 s24, exec_lo, s25
	s_cbranch_execnz .LBB4_509
; %bb.296:                              ;   in Loop: Header=BB4_267 Depth=3
	s_or_saveexec_b32 s24, s24
	v_mov_b32_e32 v54, 0x7f800001
	s_xor_b32 exec_lo, exec_lo, s24
	s_cbranch_execnz .LBB4_512
.LBB4_297:                              ;   in Loop: Header=BB4_267 Depth=3
	s_or_b32 exec_lo, exec_lo, s24
	s_and_saveexec_b32 s24, s11
	s_cbranch_execz .LBB4_299
.LBB4_298:                              ;   in Loop: Header=BB4_267 Depth=3
	v_and_b32_sdwa v54, v42, v22 dst_sel:DWORD dst_unused:UNUSED_PAD src0_sel:DWORD src1_sel:BYTE_1
	v_and_b32_e32 v83, 7, v54
	v_bfe_u32 v73, v54, 3, 4
	v_ffbh_u32_e32 v96, v83
	v_cmp_eq_u32_e32 vcc_lo, 0, v73
	v_min_u32_e32 v96, 32, v96
	v_subrev_nc_u32_e32 v97, 28, v96
	v_sub_nc_u32_e32 v96, 29, v96
	v_lshlrev_b32_e32 v54, v97, v54
	v_lshlrev_b32_sdwa v97, v43, v22 dst_sel:DWORD dst_unused:UNUSED_PAD src0_sel:DWORD src1_sel:BYTE_1
	v_cndmask_b32_e32 v96, v73, v96, vcc_lo
	v_and_b32_e32 v54, 7, v54
	v_lshl_add_u32 v96, v96, 23, 0x3b800000
	v_cndmask_b32_e32 v54, v83, v54, vcc_lo
	v_and_b32_e32 v83, 0x80000000, v97
	v_lshlrev_b32_e32 v54, 20, v54
	v_or3_b32 v54, v83, v96, v54
.LBB4_299:                              ;   in Loop: Header=BB4_267 Depth=3
	s_or_b32 exec_lo, exec_lo, s24
	v_mul_f32_e32 v54, v0, v54
	v_and_b32_e32 v83, 0x7f800000, v54
	v_cmp_ne_u32_e32 vcc_lo, 0x7f800000, v83
	v_mov_b32_e32 v83, 0x8000
	s_and_saveexec_b32 s24, vcc_lo
	s_cbranch_execz .LBB4_307
; %bb.300:                              ;   in Loop: Header=BB4_267 Depth=3
	v_mov_b32_e32 v83, 0
	s_mov_b32 s25, exec_lo
	v_cmpx_ne_u32_e32 0, v54
	s_cbranch_execz .LBB4_306
; %bb.301:                              ;   in Loop: Header=BB4_267 Depth=3
	v_bfe_u32 v83, v54, 23, 8
	v_and_b32_e32 v96, 0x7fffff, v54
	v_sub_nc_u32_e32 v97, 0x78, v83
	v_cmp_gt_u32_e32 vcc_lo, 0x79, v83
	v_or_b32_e32 v73, 0x800000, v96
	v_cndmask_b32_e32 v97, 0, v97, vcc_lo
	v_cmp_eq_u32_e32 vcc_lo, 0, v83
	v_add_nc_u32_e32 v83, 0xffffff89, v83
	v_cndmask_b32_e64 v97, v97, 0x77, vcc_lo
	v_cndmask_b32_e32 v96, v73, v96, vcc_lo
	v_cndmask_b32_e64 v83, v83, 0xffffff8a, vcc_lo
	v_lshl_add_u32 v73, 0x100000, v97, -1
	v_lshrrev_b32_e32 v76, v97, v96
	v_lshlrev_b32_e64 v78, v97, 0x80000
	v_add_nc_u32_e32 v97, v97, v83
	v_and_b32_e32 v96, v73, v96
	v_bfe_u32 v77, v76, 20, 1
	v_cmp_eq_u32_e64 s11, v96, v78
	v_add_nc_u32_e32 v73, -1, v77
	v_cndmask_b32_e64 v96, 0, v73, s11
	v_lshrrev_b32_e32 v73, 23, v76
	s_mov_b32 s11, exec_lo
	v_add_nc_u32_e32 v96, v96, v76
	v_xor_b32_e32 v73, 1, v73
	v_and_b32_e32 v83, 0xfffff, v96
	v_add_nc_u32_e32 v96, v83, v76
                                        ; implicit-def: $vgpr83
	v_cmpx_ne_u32_e64 v97, v73
	s_xor_b32 s11, exec_lo, s11
; %bb.302:                              ;   in Loop: Header=BB4_267 Depth=3
	v_cmp_lt_u32_e32 vcc_lo, 0xffffff, v96
	v_sub_nc_u32_e32 v83, v97, v73
	v_cndmask_b32_e64 v97, 0, 1, vcc_lo
	v_add_co_ci_u32_e64 v83, null, 0, v83, vcc_lo
	v_lshrrev_b32_e32 v96, v97, v96
; %bb.303:                              ;   in Loop: Header=BB4_267 Depth=3
	s_andn2_saveexec_b32 s11, s11
; %bb.304:                              ;   in Loop: Header=BB4_267 Depth=3
	v_bfe_u32 v83, v96, 23, 1
; %bb.305:                              ;   in Loop: Header=BB4_267 Depth=3
	s_or_b32 exec_lo, exec_lo, s11
	v_lshrrev_b32_e32 v96, 20, v96
	v_min_i32_e32 v97, 15, v83
	v_cmp_gt_i32_e32 vcc_lo, 16, v83
	v_and_b32_sdwa v54, v54, v41 dst_sel:DWORD dst_unused:UNUSED_PAD src0_sel:BYTE_3 src1_sel:DWORD
	v_lshlrev_b32_e32 v97, 3, v97
	v_cndmask_b32_e32 v96, 7, v96, vcc_lo
	v_and_b32_e32 v97, 0xf8, v97
	v_and_b32_e32 v73, 7, v96
	v_or_b32_e32 v83, v83, v96
	v_or3_b32 v54, v54, v97, v73
	v_cmp_ne_u32_e32 vcc_lo, 0, v83
	v_lshlrev_b32_e32 v54, 8, v54
	v_cndmask_b32_e32 v83, 0, v54, vcc_lo
.LBB4_306:                              ;   in Loop: Header=BB4_267 Depth=3
	s_or_b32 exec_lo, exec_lo, s25
.LBB4_307:                              ;   in Loop: Header=BB4_267 Depth=3
	s_or_b32 exec_lo, exec_lo, s24
	v_and_b32_sdwa v96, v22, v44 dst_sel:DWORD dst_unused:UNUSED_PAD src0_sel:WORD_1 src1_sel:DWORD
	s_mov_b32 s11, 0
	s_mov_b32 s24, exec_lo
	v_cmpx_lt_i16_e32 0x7f, v96
	s_xor_b32 s24, exec_lo, s24
	s_cbranch_execnz .LBB4_513
; %bb.308:                              ;   in Loop: Header=BB4_267 Depth=3
	s_or_saveexec_b32 s24, s24
	v_mov_b32_e32 v54, 0x7f800001
	s_xor_b32 exec_lo, exec_lo, s24
	s_cbranch_execnz .LBB4_516
.LBB4_309:                              ;   in Loop: Header=BB4_267 Depth=3
	s_or_b32 exec_lo, exec_lo, s24
	s_and_saveexec_b32 s24, s11
	s_cbranch_execz .LBB4_311
.LBB4_310:                              ;   in Loop: Header=BB4_267 Depth=3
	v_bfe_u32 v54, v22, 16, 3
	v_bfe_u32 v73, v22, 19, 4
	v_lshlrev_b32_e32 v76, 8, v22
	v_ffbh_u32_e32 v96, v54
	v_cmp_eq_u32_e32 vcc_lo, 0, v73
	v_min_u32_e32 v96, 32, v96
	v_subrev_nc_u32_e32 v97, 28, v96
	v_sub_nc_u32_e32 v96, 29, v96
	v_lshlrev_b32_sdwa v97, v97, v22 dst_sel:DWORD dst_unused:UNUSED_PAD src0_sel:DWORD src1_sel:WORD_1
	v_cndmask_b32_e32 v96, v73, v96, vcc_lo
	v_and_b32_e32 v97, 7, v97
	v_lshl_add_u32 v96, v96, 23, 0x3b800000
	v_cndmask_b32_e32 v54, v54, v97, vcc_lo
	v_and_b32_e32 v97, 0x80000000, v76
	v_lshlrev_b32_e32 v54, 20, v54
	v_or3_b32 v54, v97, v96, v54
.LBB4_311:                              ;   in Loop: Header=BB4_267 Depth=3
	s_or_b32 exec_lo, exec_lo, s24
	v_mul_f32_e32 v54, v0, v54
	v_and_b32_e32 v96, 0x7f800000, v54
	v_cmp_ne_u32_e32 vcc_lo, 0x7f800000, v96
	v_mov_b32_e32 v96, 0x80
	s_and_saveexec_b32 s24, vcc_lo
	s_cbranch_execz .LBB4_319
; %bb.312:                              ;   in Loop: Header=BB4_267 Depth=3
	v_mov_b32_e32 v96, 0
	s_mov_b32 s25, exec_lo
	v_cmpx_ne_u32_e32 0, v54
	s_cbranch_execz .LBB4_318
; %bb.313:                              ;   in Loop: Header=BB4_267 Depth=3
	v_bfe_u32 v96, v54, 23, 8
	v_and_b32_e32 v97, 0x7fffff, v54
	v_sub_nc_u32_e32 v73, 0x78, v96
	v_cmp_gt_u32_e32 vcc_lo, 0x79, v96
	v_or_b32_e32 v76, 0x800000, v97
	v_cndmask_b32_e32 v73, 0, v73, vcc_lo
	v_cmp_eq_u32_e32 vcc_lo, 0, v96
	v_add_nc_u32_e32 v96, 0xffffff89, v96
	v_cndmask_b32_e64 v73, v73, 0x77, vcc_lo
	v_cndmask_b32_e32 v97, v76, v97, vcc_lo
	v_cndmask_b32_e64 v96, v96, 0xffffff8a, vcc_lo
	v_lshl_add_u32 v76, 0x100000, v73, -1
	v_lshrrev_b32_e32 v77, v73, v97
	v_lshlrev_b32_e64 v79, v73, 0x80000
	v_add_nc_u32_e32 v73, v73, v96
	v_and_b32_e32 v97, v76, v97
	v_bfe_u32 v78, v77, 20, 1
	v_cmp_eq_u32_e64 s11, v97, v79
	v_add_nc_u32_e32 v76, -1, v78
	v_cndmask_b32_e64 v97, 0, v76, s11
	v_lshrrev_b32_e32 v76, 23, v77
	s_mov_b32 s11, exec_lo
	v_add_nc_u32_e32 v97, v97, v77
	v_xor_b32_e32 v76, 1, v76
	v_and_b32_e32 v96, 0xfffff, v97
	v_add_nc_u32_e32 v97, v96, v77
                                        ; implicit-def: $vgpr96
	v_cmpx_ne_u32_e64 v73, v76
	s_xor_b32 s11, exec_lo, s11
; %bb.314:                              ;   in Loop: Header=BB4_267 Depth=3
	v_cmp_lt_u32_e32 vcc_lo, 0xffffff, v97
	v_sub_nc_u32_e32 v96, v73, v76
	v_cndmask_b32_e64 v73, 0, 1, vcc_lo
	v_add_co_ci_u32_e64 v96, null, 0, v96, vcc_lo
	v_lshrrev_b32_e32 v97, v73, v97
; %bb.315:                              ;   in Loop: Header=BB4_267 Depth=3
	s_andn2_saveexec_b32 s11, s11
; %bb.316:                              ;   in Loop: Header=BB4_267 Depth=3
	v_bfe_u32 v96, v97, 23, 1
; %bb.317:                              ;   in Loop: Header=BB4_267 Depth=3
	s_or_b32 exec_lo, exec_lo, s11
	v_lshrrev_b32_e32 v97, 20, v97
	v_min_i32_e32 v73, 15, v96
	v_cmp_gt_i32_e32 vcc_lo, 16, v96
	v_and_b32_sdwa v54, v54, v41 dst_sel:DWORD dst_unused:UNUSED_PAD src0_sel:BYTE_3 src1_sel:DWORD
	v_lshlrev_b32_e32 v73, 3, v73
	v_cndmask_b32_e32 v97, 7, v97, vcc_lo
	v_and_b32_e32 v73, 0xf8, v73
	v_and_b32_e32 v76, 7, v97
	v_or_b32_e32 v96, v96, v97
	v_or3_b32 v54, v73, v54, v76
	v_cmp_ne_u32_e32 vcc_lo, 0, v96
	v_cndmask_b32_e32 v96, 0, v54, vcc_lo
.LBB4_318:                              ;   in Loop: Header=BB4_267 Depth=3
	s_or_b32 exec_lo, exec_lo, s25
.LBB4_319:                              ;   in Loop: Header=BB4_267 Depth=3
	s_or_b32 exec_lo, exec_lo, s24
	v_cmp_gt_i16_sdwa s24, v22, v40 src0_sel:BYTE_3 src1_sel:DWORD
	s_mov_b32 s11, 0
	s_and_saveexec_b32 s25, s24
	s_xor_b32 s24, exec_lo, s25
	s_cbranch_execnz .LBB4_517
; %bb.320:                              ;   in Loop: Header=BB4_267 Depth=3
	s_or_saveexec_b32 s24, s24
	v_mov_b32_e32 v54, 0x7f800001
	s_xor_b32 exec_lo, exec_lo, s24
	s_cbranch_execnz .LBB4_520
.LBB4_321:                              ;   in Loop: Header=BB4_267 Depth=3
	s_or_b32 exec_lo, exec_lo, s24
	s_and_saveexec_b32 s24, s11
	s_cbranch_execz .LBB4_323
.LBB4_322:                              ;   in Loop: Header=BB4_267 Depth=3
	v_bfe_u32 v54, v22, 24, 3
	v_bfe_u32 v76, v22, 27, 4
	v_ffbh_u32_e32 v97, v54
	v_cmp_eq_u32_e32 vcc_lo, 0, v76
	v_min_u32_e32 v97, 32, v97
	v_subrev_nc_u32_e32 v73, 28, v97
	v_sub_nc_u32_e32 v97, 29, v97
	v_lshlrev_b32_sdwa v73, v73, v22 dst_sel:DWORD dst_unused:UNUSED_PAD src0_sel:DWORD src1_sel:BYTE_3
	v_cndmask_b32_e32 v97, v76, v97, vcc_lo
	v_and_b32_e32 v22, 0x80000000, v22
	v_and_b32_e32 v73, 7, v73
	v_lshl_add_u32 v97, v97, 23, 0x3b800000
	v_cndmask_b32_e32 v54, v54, v73, vcc_lo
	v_lshlrev_b32_e32 v54, 20, v54
	v_or3_b32 v54, v22, v97, v54
.LBB4_323:                              ;   in Loop: Header=BB4_267 Depth=3
	s_or_b32 exec_lo, exec_lo, s24
	v_mul_f32_e32 v22, v0, v54
	v_mov_b32_e32 v73, 0x8000
	s_mov_b32 s24, exec_lo
	v_and_b32_e32 v54, 0x7f800000, v22
	v_cmpx_ne_u32_e32 0x7f800000, v54
	s_cbranch_execz .LBB4_331
; %bb.324:                              ;   in Loop: Header=BB4_267 Depth=3
	v_mov_b32_e32 v73, 0
	s_mov_b32 s25, exec_lo
	v_cmpx_ne_u32_e32 0, v22
	s_cbranch_execz .LBB4_330
; %bb.325:                              ;   in Loop: Header=BB4_267 Depth=3
	v_bfe_u32 v54, v22, 23, 8
	v_and_b32_e32 v97, 0x7fffff, v22
	v_sub_nc_u32_e32 v73, 0x78, v54
	v_cmp_gt_u32_e32 vcc_lo, 0x79, v54
	v_or_b32_e32 v76, 0x800000, v97
	v_cndmask_b32_e32 v73, 0, v73, vcc_lo
	v_cmp_eq_u32_e32 vcc_lo, 0, v54
	v_add_nc_u32_e32 v54, 0xffffff89, v54
	v_cndmask_b32_e64 v73, v73, 0x77, vcc_lo
	v_cndmask_b32_e32 v97, v76, v97, vcc_lo
	v_cndmask_b32_e64 v54, v54, 0xffffff8a, vcc_lo
	v_lshl_add_u32 v76, 0x100000, v73, -1
	v_lshrrev_b32_e32 v77, v73, v97
	v_lshlrev_b32_e64 v79, v73, 0x80000
	v_add_nc_u32_e32 v73, v73, v54
	v_and_b32_e32 v97, v76, v97
	v_bfe_u32 v78, v77, 20, 1
	v_cmp_eq_u32_e64 s11, v97, v79
	v_add_nc_u32_e32 v76, -1, v78
	v_cndmask_b32_e64 v97, 0, v76, s11
	v_lshrrev_b32_e32 v76, 23, v77
	s_mov_b32 s11, exec_lo
	v_add_nc_u32_e32 v97, v97, v77
	v_xor_b32_e32 v76, 1, v76
	v_and_b32_e32 v54, 0xfffff, v97
	v_add_nc_u32_e32 v97, v54, v77
                                        ; implicit-def: $vgpr54
	v_cmpx_ne_u32_e64 v73, v76
	s_xor_b32 s11, exec_lo, s11
; %bb.326:                              ;   in Loop: Header=BB4_267 Depth=3
	v_cmp_lt_u32_e32 vcc_lo, 0xffffff, v97
	v_sub_nc_u32_e32 v54, v73, v76
	v_cndmask_b32_e64 v73, 0, 1, vcc_lo
	v_add_co_ci_u32_e64 v54, null, 0, v54, vcc_lo
	v_lshrrev_b32_e32 v97, v73, v97
; %bb.327:                              ;   in Loop: Header=BB4_267 Depth=3
	s_andn2_saveexec_b32 s11, s11
; %bb.328:                              ;   in Loop: Header=BB4_267 Depth=3
	v_bfe_u32 v54, v97, 23, 1
; %bb.329:                              ;   in Loop: Header=BB4_267 Depth=3
	s_or_b32 exec_lo, exec_lo, s11
	v_lshrrev_b32_e32 v97, 20, v97
	v_min_i32_e32 v73, 15, v54
	v_cmp_gt_i32_e32 vcc_lo, 16, v54
	v_and_b32_sdwa v22, v22, v41 dst_sel:DWORD dst_unused:UNUSED_PAD src0_sel:BYTE_3 src1_sel:DWORD
	v_lshlrev_b32_e32 v73, 3, v73
	v_cndmask_b32_e32 v97, 7, v97, vcc_lo
	v_and_b32_e32 v73, 0xf8, v73
	v_and_b32_e32 v76, 7, v97
	v_or_b32_e32 v54, v54, v97
	v_or3_b32 v22, v22, v73, v76
	v_cmp_ne_u32_e32 vcc_lo, 0, v54
	v_lshlrev_b32_e32 v22, 8, v22
	v_cndmask_b32_e32 v73, 0, v22, vcc_lo
.LBB4_330:                              ;   in Loop: Header=BB4_267 Depth=3
	s_or_b32 exec_lo, exec_lo, s25
.LBB4_331:                              ;   in Loop: Header=BB4_267 Depth=3
	s_or_b32 exec_lo, exec_lo, s24
	v_alignbit_b32 v54, v74, v75, v20
	s_mov_b32 s11, 0
	v_cmp_gt_i16_sdwa s24, v54, v40 src0_sel:BYTE_0 src1_sel:DWORD
	s_and_saveexec_b32 s25, s24
	s_xor_b32 s24, exec_lo, s25
	s_cbranch_execnz .LBB4_521
; %bb.332:                              ;   in Loop: Header=BB4_267 Depth=3
	s_or_saveexec_b32 s24, s24
	v_mov_b32_e32 v20, 0x7f800001
	s_xor_b32 exec_lo, exec_lo, s24
	s_cbranch_execnz .LBB4_524
.LBB4_333:                              ;   in Loop: Header=BB4_267 Depth=3
	s_or_b32 exec_lo, exec_lo, s24
	s_and_saveexec_b32 s24, s11
	s_cbranch_execz .LBB4_335
.LBB4_334:                              ;   in Loop: Header=BB4_267 Depth=3
	v_and_b32_e32 v20, 7, v54
	v_bfe_u32 v74, v54, 3, 4
	v_lshlrev_b32_e32 v75, 24, v54
	v_ffbh_u32_e32 v22, v20
	v_cmp_eq_u32_e32 vcc_lo, 0, v74
	v_min_u32_e32 v22, 32, v22
	v_subrev_nc_u32_e32 v97, 28, v22
	v_sub_nc_u32_e32 v22, 29, v22
	v_lshlrev_b32_e32 v97, v97, v54
	v_cndmask_b32_e32 v22, v74, v22, vcc_lo
	v_and_b32_e32 v97, 7, v97
	v_lshl_add_u32 v22, v22, 23, 0x3b800000
	v_cndmask_b32_e32 v20, v20, v97, vcc_lo
	v_and_b32_e32 v97, 0x80000000, v75
	v_lshlrev_b32_e32 v20, 20, v20
	v_or3_b32 v20, v97, v22, v20
.LBB4_335:                              ;   in Loop: Header=BB4_267 Depth=3
	s_or_b32 exec_lo, exec_lo, s24
	v_mul_f32_e32 v20, v0, v20
	v_and_b32_e32 v22, 0x7f800000, v20
	v_cmp_ne_u32_e32 vcc_lo, 0x7f800000, v22
	v_mov_b32_e32 v22, 0x80
	s_and_saveexec_b32 s24, vcc_lo
	s_cbranch_execz .LBB4_343
; %bb.336:                              ;   in Loop: Header=BB4_267 Depth=3
	v_mov_b32_e32 v22, 0
	s_mov_b32 s25, exec_lo
	v_cmpx_ne_u32_e32 0, v20
	s_cbranch_execz .LBB4_342
; %bb.337:                              ;   in Loop: Header=BB4_267 Depth=3
	v_bfe_u32 v22, v20, 23, 8
	v_and_b32_e32 v97, 0x7fffff, v20
	v_sub_nc_u32_e32 v74, 0x78, v22
	v_cmp_gt_u32_e32 vcc_lo, 0x79, v22
	v_or_b32_e32 v75, 0x800000, v97
	v_cndmask_b32_e32 v74, 0, v74, vcc_lo
	v_cmp_eq_u32_e32 vcc_lo, 0, v22
	v_add_nc_u32_e32 v22, 0xffffff89, v22
	v_cndmask_b32_e64 v74, v74, 0x77, vcc_lo
	v_cndmask_b32_e32 v97, v75, v97, vcc_lo
	v_cndmask_b32_e64 v22, v22, 0xffffff8a, vcc_lo
	v_lshl_add_u32 v75, 0x100000, v74, -1
	v_lshrrev_b32_e32 v76, v74, v97
	v_lshlrev_b32_e64 v78, v74, 0x80000
	v_add_nc_u32_e32 v74, v74, v22
	v_and_b32_e32 v97, v75, v97
	v_bfe_u32 v77, v76, 20, 1
	v_cmp_eq_u32_e64 s11, v97, v78
	v_add_nc_u32_e32 v75, -1, v77
	v_cndmask_b32_e64 v97, 0, v75, s11
	v_lshrrev_b32_e32 v75, 23, v76
	s_mov_b32 s11, exec_lo
	v_add_nc_u32_e32 v97, v97, v76
	v_xor_b32_e32 v75, 1, v75
	v_and_b32_e32 v22, 0xfffff, v97
	v_add_nc_u32_e32 v97, v22, v76
                                        ; implicit-def: $vgpr22
	v_cmpx_ne_u32_e64 v74, v75
	s_xor_b32 s11, exec_lo, s11
; %bb.338:                              ;   in Loop: Header=BB4_267 Depth=3
	v_cmp_lt_u32_e32 vcc_lo, 0xffffff, v97
	v_sub_nc_u32_e32 v22, v74, v75
	v_cndmask_b32_e64 v74, 0, 1, vcc_lo
	v_add_co_ci_u32_e64 v22, null, 0, v22, vcc_lo
	v_lshrrev_b32_e32 v97, v74, v97
; %bb.339:                              ;   in Loop: Header=BB4_267 Depth=3
	s_andn2_saveexec_b32 s11, s11
; %bb.340:                              ;   in Loop: Header=BB4_267 Depth=3
	v_bfe_u32 v22, v97, 23, 1
; %bb.341:                              ;   in Loop: Header=BB4_267 Depth=3
	s_or_b32 exec_lo, exec_lo, s11
	v_lshrrev_b32_e32 v97, 20, v97
	v_min_i32_e32 v74, 15, v22
	v_cmp_gt_i32_e32 vcc_lo, 16, v22
	v_and_b32_sdwa v20, v20, v41 dst_sel:DWORD dst_unused:UNUSED_PAD src0_sel:BYTE_3 src1_sel:DWORD
	v_lshlrev_b32_e32 v74, 3, v74
	v_cndmask_b32_e32 v97, 7, v97, vcc_lo
	v_and_b32_e32 v74, 0xf8, v74
	v_and_b32_e32 v75, 7, v97
	v_or_b32_e32 v22, v22, v97
	v_or3_b32 v20, v74, v20, v75
	v_cmp_ne_u32_e32 vcc_lo, 0, v22
	v_cndmask_b32_e32 v22, 0, v20, vcc_lo
.LBB4_342:                              ;   in Loop: Header=BB4_267 Depth=3
	s_or_b32 exec_lo, exec_lo, s25
.LBB4_343:                              ;   in Loop: Header=BB4_267 Depth=3
	s_or_b32 exec_lo, exec_lo, s24
	v_cmp_gt_i16_sdwa s24, v54, v40 src0_sel:BYTE_1 src1_sel:DWORD
	s_mov_b32 s11, 0
	s_and_saveexec_b32 s25, s24
	s_xor_b32 s24, exec_lo, s25
	s_cbranch_execnz .LBB4_525
; %bb.344:                              ;   in Loop: Header=BB4_267 Depth=3
	s_or_saveexec_b32 s24, s24
	v_mov_b32_e32 v20, 0x7f800001
	s_xor_b32 exec_lo, exec_lo, s24
	s_cbranch_execnz .LBB4_528
.LBB4_345:                              ;   in Loop: Header=BB4_267 Depth=3
	s_or_b32 exec_lo, exec_lo, s24
	s_and_saveexec_b32 s24, s11
	s_cbranch_execz .LBB4_347
.LBB4_346:                              ;   in Loop: Header=BB4_267 Depth=3
	v_and_b32_sdwa v20, v42, v54 dst_sel:DWORD dst_unused:UNUSED_PAD src0_sel:DWORD src1_sel:BYTE_1
	v_and_b32_e32 v97, 7, v20
	v_bfe_u32 v76, v20, 3, 4
	v_ffbh_u32_e32 v74, v97
	v_cmp_eq_u32_e32 vcc_lo, 0, v76
	v_min_u32_e32 v74, 32, v74
	v_subrev_nc_u32_e32 v75, 28, v74
	v_sub_nc_u32_e32 v74, 29, v74
	v_lshlrev_b32_e32 v20, v75, v20
	v_lshlrev_b32_sdwa v75, v43, v54 dst_sel:DWORD dst_unused:UNUSED_PAD src0_sel:DWORD src1_sel:BYTE_1
	v_cndmask_b32_e32 v74, v76, v74, vcc_lo
	v_and_b32_e32 v20, 7, v20
	v_lshl_add_u32 v74, v74, 23, 0x3b800000
	v_cndmask_b32_e32 v20, v97, v20, vcc_lo
	v_and_b32_e32 v97, 0x80000000, v75
	v_lshlrev_b32_e32 v20, 20, v20
	v_or3_b32 v20, v97, v74, v20
.LBB4_347:                              ;   in Loop: Header=BB4_267 Depth=3
	s_or_b32 exec_lo, exec_lo, s24
	v_mul_f32_e32 v20, v0, v20
	v_and_b32_e32 v97, 0x7f800000, v20
	v_cmp_ne_u32_e32 vcc_lo, 0x7f800000, v97
	v_mov_b32_e32 v97, 0x8000
	s_and_saveexec_b32 s24, vcc_lo
	s_cbranch_execz .LBB4_355
; %bb.348:                              ;   in Loop: Header=BB4_267 Depth=3
	v_mov_b32_e32 v97, 0
	s_mov_b32 s25, exec_lo
	v_cmpx_ne_u32_e32 0, v20
	s_cbranch_execz .LBB4_354
; %bb.349:                              ;   in Loop: Header=BB4_267 Depth=3
	v_bfe_u32 v97, v20, 23, 8
	v_and_b32_e32 v74, 0x7fffff, v20
	v_sub_nc_u32_e32 v75, 0x78, v97
	v_cmp_gt_u32_e32 vcc_lo, 0x79, v97
	v_or_b32_e32 v76, 0x800000, v74
	v_cndmask_b32_e32 v75, 0, v75, vcc_lo
	v_cmp_eq_u32_e32 vcc_lo, 0, v97
	v_add_nc_u32_e32 v97, 0xffffff89, v97
	v_cndmask_b32_e64 v75, v75, 0x77, vcc_lo
	v_cndmask_b32_e32 v74, v76, v74, vcc_lo
	v_cndmask_b32_e64 v97, v97, 0xffffff8a, vcc_lo
	v_lshl_add_u32 v76, 0x100000, v75, -1
	v_lshrrev_b32_e32 v77, v75, v74
	v_lshlrev_b32_e64 v79, v75, 0x80000
	v_add_nc_u32_e32 v75, v75, v97
	v_and_b32_e32 v74, v76, v74
	v_bfe_u32 v78, v77, 20, 1
	v_cmp_eq_u32_e64 s11, v74, v79
	v_add_nc_u32_e32 v76, -1, v78
	v_cndmask_b32_e64 v74, 0, v76, s11
	v_lshrrev_b32_e32 v76, 23, v77
	s_mov_b32 s11, exec_lo
	v_add_nc_u32_e32 v74, v74, v77
	v_xor_b32_e32 v76, 1, v76
	v_and_b32_e32 v97, 0xfffff, v74
	v_add_nc_u32_e32 v74, v97, v77
                                        ; implicit-def: $vgpr97
	v_cmpx_ne_u32_e64 v75, v76
	s_xor_b32 s11, exec_lo, s11
; %bb.350:                              ;   in Loop: Header=BB4_267 Depth=3
	v_cmp_lt_u32_e32 vcc_lo, 0xffffff, v74
	v_sub_nc_u32_e32 v97, v75, v76
	v_cndmask_b32_e64 v75, 0, 1, vcc_lo
	v_add_co_ci_u32_e64 v97, null, 0, v97, vcc_lo
	v_lshrrev_b32_e32 v74, v75, v74
; %bb.351:                              ;   in Loop: Header=BB4_267 Depth=3
	s_andn2_saveexec_b32 s11, s11
; %bb.352:                              ;   in Loop: Header=BB4_267 Depth=3
	v_bfe_u32 v97, v74, 23, 1
; %bb.353:                              ;   in Loop: Header=BB4_267 Depth=3
	s_or_b32 exec_lo, exec_lo, s11
	v_lshrrev_b32_e32 v74, 20, v74
	v_min_i32_e32 v75, 15, v97
	v_cmp_gt_i32_e32 vcc_lo, 16, v97
	v_and_b32_sdwa v20, v20, v41 dst_sel:DWORD dst_unused:UNUSED_PAD src0_sel:BYTE_3 src1_sel:DWORD
	v_lshlrev_b32_e32 v75, 3, v75
	v_cndmask_b32_e32 v74, 7, v74, vcc_lo
	v_and_b32_e32 v75, 0xf8, v75
	v_and_b32_e32 v76, 7, v74
	v_or_b32_e32 v97, v97, v74
	v_or3_b32 v20, v20, v75, v76
	v_cmp_ne_u32_e32 vcc_lo, 0, v97
	v_lshlrev_b32_e32 v20, 8, v20
	v_cndmask_b32_e32 v97, 0, v20, vcc_lo
.LBB4_354:                              ;   in Loop: Header=BB4_267 Depth=3
	s_or_b32 exec_lo, exec_lo, s25
.LBB4_355:                              ;   in Loop: Header=BB4_267 Depth=3
	s_or_b32 exec_lo, exec_lo, s24
	v_and_b32_sdwa v74, v54, v44 dst_sel:DWORD dst_unused:UNUSED_PAD src0_sel:WORD_1 src1_sel:DWORD
	s_mov_b32 s11, 0
	s_mov_b32 s24, exec_lo
	v_cmpx_lt_i16_e32 0x7f, v74
	s_xor_b32 s24, exec_lo, s24
	s_cbranch_execnz .LBB4_529
; %bb.356:                              ;   in Loop: Header=BB4_267 Depth=3
	s_or_saveexec_b32 s24, s24
	v_mov_b32_e32 v20, 0x7f800001
	s_xor_b32 exec_lo, exec_lo, s24
	s_cbranch_execnz .LBB4_532
.LBB4_357:                              ;   in Loop: Header=BB4_267 Depth=3
	s_or_b32 exec_lo, exec_lo, s24
	s_and_saveexec_b32 s24, s11
	s_cbranch_execz .LBB4_359
.LBB4_358:                              ;   in Loop: Header=BB4_267 Depth=3
	v_bfe_u32 v20, v54, 16, 3
	v_bfe_u32 v76, v54, 19, 4
	v_lshlrev_b32_e32 v77, 8, v54
	v_ffbh_u32_e32 v74, v20
	v_cmp_eq_u32_e32 vcc_lo, 0, v76
	v_min_u32_e32 v74, 32, v74
	v_subrev_nc_u32_e32 v75, 28, v74
	v_sub_nc_u32_e32 v74, 29, v74
	v_lshlrev_b32_sdwa v75, v75, v54 dst_sel:DWORD dst_unused:UNUSED_PAD src0_sel:DWORD src1_sel:WORD_1
	v_cndmask_b32_e32 v74, v76, v74, vcc_lo
	v_and_b32_e32 v75, 7, v75
	v_lshl_add_u32 v74, v74, 23, 0x3b800000
	v_cndmask_b32_e32 v20, v20, v75, vcc_lo
	v_and_b32_e32 v75, 0x80000000, v77
	v_lshlrev_b32_e32 v20, 20, v20
	v_or3_b32 v20, v75, v74, v20
.LBB4_359:                              ;   in Loop: Header=BB4_267 Depth=3
	s_or_b32 exec_lo, exec_lo, s24
	v_mul_f32_e32 v74, v0, v20
	v_and_b32_e32 v20, 0x7f800000, v74
	v_cmp_ne_u32_e32 vcc_lo, 0x7f800000, v20
	v_mov_b32_e32 v20, 0x80
	s_and_saveexec_b32 s24, vcc_lo
	s_cbranch_execz .LBB4_367
; %bb.360:                              ;   in Loop: Header=BB4_267 Depth=3
	v_mov_b32_e32 v20, 0
	s_mov_b32 s25, exec_lo
	v_cmpx_ne_u32_e32 0, v74
	s_cbranch_execz .LBB4_366
; %bb.361:                              ;   in Loop: Header=BB4_267 Depth=3
	v_bfe_u32 v20, v74, 23, 8
	v_and_b32_e32 v75, 0x7fffff, v74
	v_sub_nc_u32_e32 v76, 0x78, v20
	v_cmp_gt_u32_e32 vcc_lo, 0x79, v20
	v_or_b32_e32 v77, 0x800000, v75
	v_cndmask_b32_e32 v76, 0, v76, vcc_lo
	v_cmp_eq_u32_e32 vcc_lo, 0, v20
	v_add_nc_u32_e32 v20, 0xffffff89, v20
	v_cndmask_b32_e64 v76, v76, 0x77, vcc_lo
	v_cndmask_b32_e32 v75, v77, v75, vcc_lo
	v_cndmask_b32_e64 v20, v20, 0xffffff8a, vcc_lo
	v_lshl_add_u32 v77, 0x100000, v76, -1
	v_lshrrev_b32_e32 v78, v76, v75
	v_lshlrev_b32_e64 v88, v76, 0x80000
	v_add_nc_u32_e32 v76, v76, v20
	v_and_b32_e32 v75, v77, v75
	v_bfe_u32 v79, v78, 20, 1
	v_cmp_eq_u32_e64 s11, v75, v88
	v_add_nc_u32_e32 v77, -1, v79
	v_cndmask_b32_e64 v75, 0, v77, s11
	v_lshrrev_b32_e32 v77, 23, v78
	s_mov_b32 s11, exec_lo
	v_add_nc_u32_e32 v75, v75, v78
	v_xor_b32_e32 v77, 1, v77
	v_and_b32_e32 v20, 0xfffff, v75
	v_add_nc_u32_e32 v75, v20, v78
                                        ; implicit-def: $vgpr20
	v_cmpx_ne_u32_e64 v76, v77
	s_xor_b32 s11, exec_lo, s11
; %bb.362:                              ;   in Loop: Header=BB4_267 Depth=3
	v_cmp_lt_u32_e32 vcc_lo, 0xffffff, v75
	v_sub_nc_u32_e32 v20, v76, v77
	v_cndmask_b32_e64 v76, 0, 1, vcc_lo
	v_add_co_ci_u32_e64 v20, null, 0, v20, vcc_lo
	v_lshrrev_b32_e32 v75, v76, v75
; %bb.363:                              ;   in Loop: Header=BB4_267 Depth=3
	s_andn2_saveexec_b32 s11, s11
; %bb.364:                              ;   in Loop: Header=BB4_267 Depth=3
	v_bfe_u32 v20, v75, 23, 1
; %bb.365:                              ;   in Loop: Header=BB4_267 Depth=3
	s_or_b32 exec_lo, exec_lo, s11
	v_lshrrev_b32_e32 v75, 20, v75
	v_min_i32_e32 v76, 15, v20
	v_cmp_gt_i32_e32 vcc_lo, 16, v20
	v_and_b32_sdwa v74, v74, v41 dst_sel:DWORD dst_unused:UNUSED_PAD src0_sel:BYTE_3 src1_sel:DWORD
	v_lshlrev_b32_e32 v76, 3, v76
	v_cndmask_b32_e32 v75, 7, v75, vcc_lo
	v_and_b32_e32 v76, 0xf8, v76
	v_and_b32_e32 v77, 7, v75
	v_or_b32_e32 v20, v20, v75
	v_or3_b32 v74, v76, v74, v77
	v_cmp_ne_u32_e32 vcc_lo, 0, v20
	v_cndmask_b32_e32 v20, 0, v74, vcc_lo
.LBB4_366:                              ;   in Loop: Header=BB4_267 Depth=3
	s_or_b32 exec_lo, exec_lo, s25
.LBB4_367:                              ;   in Loop: Header=BB4_267 Depth=3
	s_or_b32 exec_lo, exec_lo, s24
	v_cmp_gt_i16_sdwa s24, v54, v40 src0_sel:BYTE_3 src1_sel:DWORD
	s_mov_b32 s11, 0
	s_and_saveexec_b32 s25, s24
	s_xor_b32 s24, exec_lo, s25
	s_cbranch_execnz .LBB4_533
; %bb.368:                              ;   in Loop: Header=BB4_267 Depth=3
	s_or_saveexec_b32 s24, s24
	v_mov_b32_e32 v74, 0x7f800001
	s_xor_b32 exec_lo, exec_lo, s24
	s_cbranch_execnz .LBB4_536
.LBB4_369:                              ;   in Loop: Header=BB4_267 Depth=3
	s_or_b32 exec_lo, exec_lo, s24
	s_and_saveexec_b32 s24, s11
	s_cbranch_execz .LBB4_371
.LBB4_370:                              ;   in Loop: Header=BB4_267 Depth=3
	v_bfe_u32 v74, v54, 24, 3
	v_bfe_u32 v77, v54, 27, 4
	v_ffbh_u32_e32 v75, v74
	v_cmp_eq_u32_e32 vcc_lo, 0, v77
	v_min_u32_e32 v75, 32, v75
	v_subrev_nc_u32_e32 v76, 28, v75
	v_sub_nc_u32_e32 v75, 29, v75
	v_lshlrev_b32_sdwa v76, v76, v54 dst_sel:DWORD dst_unused:UNUSED_PAD src0_sel:DWORD src1_sel:BYTE_3
	v_cndmask_b32_e32 v75, v77, v75, vcc_lo
	v_and_b32_e32 v54, 0x80000000, v54
	v_and_b32_e32 v76, 7, v76
	v_lshl_add_u32 v75, v75, 23, 0x3b800000
	v_cndmask_b32_e32 v74, v74, v76, vcc_lo
	v_lshlrev_b32_e32 v74, 20, v74
	v_or3_b32 v74, v54, v75, v74
.LBB4_371:                              ;   in Loop: Header=BB4_267 Depth=3
	s_or_b32 exec_lo, exec_lo, s24
	v_mul_f32_e32 v74, v0, v74
	v_and_b32_e32 v54, 0x7f800000, v74
	v_cmp_ne_u32_e32 vcc_lo, 0x7f800000, v54
	v_mov_b32_e32 v54, 0x8000
	s_and_saveexec_b32 s24, vcc_lo
	s_cbranch_execz .LBB4_379
; %bb.372:                              ;   in Loop: Header=BB4_267 Depth=3
	v_mov_b32_e32 v54, 0
	s_mov_b32 s25, exec_lo
	v_cmpx_ne_u32_e32 0, v74
	s_cbranch_execz .LBB4_378
; %bb.373:                              ;   in Loop: Header=BB4_267 Depth=3
	v_bfe_u32 v54, v74, 23, 8
	v_and_b32_e32 v75, 0x7fffff, v74
	v_sub_nc_u32_e32 v76, 0x78, v54
	v_cmp_gt_u32_e32 vcc_lo, 0x79, v54
	v_or_b32_e32 v77, 0x800000, v75
	v_cndmask_b32_e32 v76, 0, v76, vcc_lo
	v_cmp_eq_u32_e32 vcc_lo, 0, v54
	v_add_nc_u32_e32 v54, 0xffffff89, v54
	v_cndmask_b32_e64 v76, v76, 0x77, vcc_lo
	v_cndmask_b32_e32 v75, v77, v75, vcc_lo
	v_cndmask_b32_e64 v54, v54, 0xffffff8a, vcc_lo
	v_lshl_add_u32 v77, 0x100000, v76, -1
	v_lshrrev_b32_e32 v78, v76, v75
	v_lshlrev_b32_e64 v88, v76, 0x80000
	v_add_nc_u32_e32 v76, v76, v54
	v_and_b32_e32 v75, v77, v75
	v_bfe_u32 v79, v78, 20, 1
	v_cmp_eq_u32_e64 s11, v75, v88
	v_add_nc_u32_e32 v77, -1, v79
	v_cndmask_b32_e64 v75, 0, v77, s11
	v_lshrrev_b32_e32 v77, 23, v78
	s_mov_b32 s11, exec_lo
	v_add_nc_u32_e32 v75, v75, v78
	v_xor_b32_e32 v77, 1, v77
	v_and_b32_e32 v54, 0xfffff, v75
	v_add_nc_u32_e32 v75, v54, v78
                                        ; implicit-def: $vgpr54
	v_cmpx_ne_u32_e64 v76, v77
	s_xor_b32 s11, exec_lo, s11
; %bb.374:                              ;   in Loop: Header=BB4_267 Depth=3
	v_cmp_lt_u32_e32 vcc_lo, 0xffffff, v75
	v_sub_nc_u32_e32 v54, v76, v77
	v_cndmask_b32_e64 v76, 0, 1, vcc_lo
	v_add_co_ci_u32_e64 v54, null, 0, v54, vcc_lo
	v_lshrrev_b32_e32 v75, v76, v75
; %bb.375:                              ;   in Loop: Header=BB4_267 Depth=3
	s_andn2_saveexec_b32 s11, s11
; %bb.376:                              ;   in Loop: Header=BB4_267 Depth=3
	v_bfe_u32 v54, v75, 23, 1
; %bb.377:                              ;   in Loop: Header=BB4_267 Depth=3
	s_or_b32 exec_lo, exec_lo, s11
	v_lshrrev_b32_e32 v75, 20, v75
	v_min_i32_e32 v76, 15, v54
	v_cmp_gt_i32_e32 vcc_lo, 16, v54
	v_and_b32_sdwa v74, v74, v41 dst_sel:DWORD dst_unused:UNUSED_PAD src0_sel:BYTE_3 src1_sel:DWORD
	v_lshlrev_b32_e32 v76, 3, v76
	v_cndmask_b32_e32 v75, 7, v75, vcc_lo
	v_and_b32_e32 v76, 0xf8, v76
	v_and_b32_e32 v77, 7, v75
	v_or_b32_e32 v54, v54, v75
	v_or3_b32 v74, v74, v76, v77
	v_cmp_ne_u32_e32 vcc_lo, 0, v54
	v_lshlrev_b32_e32 v74, 8, v74
	v_cndmask_b32_e32 v54, 0, v74, vcc_lo
.LBB4_378:                              ;   in Loop: Header=BB4_267 Depth=3
	s_or_b32 exec_lo, exec_lo, s25
.LBB4_379:                              ;   in Loop: Header=BB4_267 Depth=3
	s_or_b32 exec_lo, exec_lo, s24
	v_cmp_gt_i16_sdwa s24, v19, v40 src0_sel:BYTE_0 src1_sel:DWORD
	s_mov_b32 s11, 0
	s_and_saveexec_b32 s25, s24
	s_xor_b32 s24, exec_lo, s25
	s_cbranch_execnz .LBB4_537
; %bb.380:                              ;   in Loop: Header=BB4_267 Depth=3
	s_or_saveexec_b32 s24, s24
	v_mov_b32_e32 v75, 0x7f800001
	s_xor_b32 exec_lo, exec_lo, s24
	s_cbranch_execnz .LBB4_540
.LBB4_381:                              ;   in Loop: Header=BB4_267 Depth=3
	s_or_b32 exec_lo, exec_lo, s24
	s_and_saveexec_b32 s24, s11
	s_cbranch_execz .LBB4_383
.LBB4_382:                              ;   in Loop: Header=BB4_267 Depth=3
	v_and_b32_e32 v74, 7, v19
	v_bfe_u32 v77, v19, 3, 4
	v_lshlrev_b32_e32 v78, 24, v19
	v_ffbh_u32_e32 v75, v74
	v_cmp_eq_u32_e32 vcc_lo, 0, v77
	v_min_u32_e32 v75, 32, v75
	v_subrev_nc_u32_e32 v76, 28, v75
	v_sub_nc_u32_e32 v75, 29, v75
	v_lshlrev_b32_e32 v76, v76, v19
	v_cndmask_b32_e32 v75, v77, v75, vcc_lo
	v_and_b32_e32 v76, 7, v76
	v_lshl_add_u32 v75, v75, 23, 0x3b800000
	v_cndmask_b32_e32 v74, v74, v76, vcc_lo
	v_and_b32_e32 v76, 0x80000000, v78
	v_lshlrev_b32_e32 v74, 20, v74
	v_or3_b32 v75, v76, v75, v74
.LBB4_383:                              ;   in Loop: Header=BB4_267 Depth=3
	s_or_b32 exec_lo, exec_lo, s24
	v_or_b32_e32 v74, v83, v17
	s_mov_b32 s11, 0
	v_cmp_gt_i16_sdwa s24, v74, v40 src0_sel:BYTE_0 src1_sel:DWORD
	s_and_saveexec_b32 s25, s24
	s_xor_b32 s24, exec_lo, s25
	s_cbranch_execnz .LBB4_541
; %bb.384:                              ;   in Loop: Header=BB4_267 Depth=3
	s_or_saveexec_b32 s24, s24
	v_mov_b32_e32 v17, 0x7f800001
	s_xor_b32 exec_lo, exec_lo, s24
	s_cbranch_execnz .LBB4_544
.LBB4_385:                              ;   in Loop: Header=BB4_267 Depth=3
	s_or_b32 exec_lo, exec_lo, s24
	s_and_saveexec_b32 s24, s11
	s_cbranch_execz .LBB4_387
.LBB4_386:                              ;   in Loop: Header=BB4_267 Depth=3
	v_and_b32_e32 v17, 7, v74
	v_bfe_u32 v77, v74, 3, 4
	v_lshlrev_b32_e32 v78, 24, v74
	v_ffbh_u32_e32 v83, v17
	v_cmp_eq_u32_e32 vcc_lo, 0, v77
	v_min_u32_e32 v83, 32, v83
	v_subrev_nc_u32_e32 v76, 28, v83
	v_sub_nc_u32_e32 v83, 29, v83
	v_lshlrev_b32_e32 v76, v76, v74
	v_cndmask_b32_e32 v83, v77, v83, vcc_lo
	v_and_b32_e32 v76, 7, v76
	v_lshl_add_u32 v83, v83, 23, 0x3b800000
	v_cndmask_b32_e32 v17, v17, v76, vcc_lo
	v_and_b32_e32 v76, 0x80000000, v78
	v_lshlrev_b32_e32 v17, 20, v17
	v_or3_b32 v17, v76, v83, v17
.LBB4_387:                              ;   in Loop: Header=BB4_267 Depth=3
	s_or_b32 exec_lo, exec_lo, s24
	v_add_f32_e32 v83, v75, v17
	v_and_b32_e32 v17, 0x7f800000, v83
	v_cmp_ne_u32_e32 vcc_lo, 0x7f800000, v17
	v_mov_b32_e32 v17, 0x80
	s_and_saveexec_b32 s24, vcc_lo
	s_cbranch_execz .LBB4_395
; %bb.388:                              ;   in Loop: Header=BB4_267 Depth=3
	v_mov_b32_e32 v17, 0
	s_mov_b32 s25, exec_lo
	v_cmpx_ne_u32_e32 0, v83
	s_cbranch_execz .LBB4_394
; %bb.389:                              ;   in Loop: Header=BB4_267 Depth=3
	v_bfe_u32 v17, v83, 23, 8
	v_and_b32_e32 v75, 0x7fffff, v83
	v_sub_nc_u32_e32 v76, 0x78, v17
	v_cmp_gt_u32_e32 vcc_lo, 0x79, v17
	v_or_b32_e32 v77, 0x800000, v75
	v_cndmask_b32_e32 v76, 0, v76, vcc_lo
	v_cmp_eq_u32_e32 vcc_lo, 0, v17
	v_add_nc_u32_e32 v17, 0xffffff89, v17
	v_cndmask_b32_e64 v76, v76, 0x77, vcc_lo
	v_cndmask_b32_e32 v75, v77, v75, vcc_lo
	v_cndmask_b32_e64 v17, v17, 0xffffff8a, vcc_lo
	v_lshl_add_u32 v77, 0x100000, v76, -1
	v_lshrrev_b32_e32 v78, v76, v75
	v_lshlrev_b32_e64 v88, v76, 0x80000
	v_add_nc_u32_e32 v76, v76, v17
	v_and_b32_e32 v75, v77, v75
	v_bfe_u32 v79, v78, 20, 1
	v_cmp_eq_u32_e64 s11, v75, v88
	v_add_nc_u32_e32 v77, -1, v79
	v_cndmask_b32_e64 v75, 0, v77, s11
	v_lshrrev_b32_e32 v77, 23, v78
	s_mov_b32 s11, exec_lo
	v_add_nc_u32_e32 v75, v75, v78
	v_xor_b32_e32 v77, 1, v77
	v_and_b32_e32 v17, 0xfffff, v75
	v_add_nc_u32_e32 v75, v17, v78
                                        ; implicit-def: $vgpr17
	v_cmpx_ne_u32_e64 v76, v77
	s_xor_b32 s11, exec_lo, s11
; %bb.390:                              ;   in Loop: Header=BB4_267 Depth=3
	v_cmp_lt_u32_e32 vcc_lo, 0xffffff, v75
	v_sub_nc_u32_e32 v17, v76, v77
	v_cndmask_b32_e64 v76, 0, 1, vcc_lo
	v_add_co_ci_u32_e64 v17, null, 0, v17, vcc_lo
	v_lshrrev_b32_e32 v75, v76, v75
; %bb.391:                              ;   in Loop: Header=BB4_267 Depth=3
	s_andn2_saveexec_b32 s11, s11
; %bb.392:                              ;   in Loop: Header=BB4_267 Depth=3
	v_bfe_u32 v17, v75, 23, 1
; %bb.393:                              ;   in Loop: Header=BB4_267 Depth=3
	s_or_b32 exec_lo, exec_lo, s11
	v_lshrrev_b32_e32 v75, 20, v75
	v_min_i32_e32 v76, 15, v17
	v_cmp_gt_i32_e32 vcc_lo, 16, v17
	v_and_b32_sdwa v83, v83, v41 dst_sel:DWORD dst_unused:UNUSED_PAD src0_sel:BYTE_3 src1_sel:DWORD
	v_lshlrev_b32_e32 v76, 3, v76
	v_cndmask_b32_e32 v75, 7, v75, vcc_lo
	v_and_b32_e32 v76, 0xf8, v76
	v_and_b32_e32 v77, 7, v75
	v_or_b32_e32 v17, v17, v75
	v_or3_b32 v83, v76, v83, v77
	v_cmp_ne_u32_e32 vcc_lo, 0, v17
	v_cndmask_b32_e32 v17, 0, v83, vcc_lo
.LBB4_394:                              ;   in Loop: Header=BB4_267 Depth=3
	s_or_b32 exec_lo, exec_lo, s25
.LBB4_395:                              ;   in Loop: Header=BB4_267 Depth=3
	s_or_b32 exec_lo, exec_lo, s24
	v_cmp_gt_i16_sdwa s24, v19, v40 src0_sel:BYTE_1 src1_sel:DWORD
	s_mov_b32 s11, 0
	s_and_saveexec_b32 s25, s24
	s_xor_b32 s24, exec_lo, s25
	s_cbranch_execnz .LBB4_545
; %bb.396:                              ;   in Loop: Header=BB4_267 Depth=3
	s_or_saveexec_b32 s24, s24
	v_mov_b32_e32 v83, 0x7f800001
	s_xor_b32 exec_lo, exec_lo, s24
	s_cbranch_execnz .LBB4_548
.LBB4_397:                              ;   in Loop: Header=BB4_267 Depth=3
	s_or_b32 exec_lo, exec_lo, s24
	s_and_saveexec_b32 s24, s11
	s_cbranch_execz .LBB4_399
.LBB4_398:                              ;   in Loop: Header=BB4_267 Depth=3
	v_and_b32_sdwa v83, v42, v19 dst_sel:DWORD dst_unused:UNUSED_PAD src0_sel:DWORD src1_sel:BYTE_1
	v_and_b32_e32 v75, 7, v83
	v_bfe_u32 v78, v83, 3, 4
	v_ffbh_u32_e32 v76, v75
	v_cmp_eq_u32_e32 vcc_lo, 0, v78
	v_min_u32_e32 v76, 32, v76
	v_subrev_nc_u32_e32 v77, 28, v76
	v_sub_nc_u32_e32 v76, 29, v76
	v_lshlrev_b32_e32 v83, v77, v83
	v_lshlrev_b32_sdwa v77, v43, v19 dst_sel:DWORD dst_unused:UNUSED_PAD src0_sel:DWORD src1_sel:BYTE_1
	v_cndmask_b32_e32 v76, v78, v76, vcc_lo
	v_and_b32_e32 v83, 7, v83
	v_lshl_add_u32 v76, v76, 23, 0x3b800000
	v_cndmask_b32_e32 v83, v75, v83, vcc_lo
	v_and_b32_e32 v75, 0x80000000, v77
	v_lshlrev_b32_e32 v83, 20, v83
	v_or3_b32 v83, v75, v76, v83
.LBB4_399:                              ;   in Loop: Header=BB4_267 Depth=3
	s_or_b32 exec_lo, exec_lo, s24
	v_cmp_gt_i16_sdwa s24, v74, v40 src0_sel:BYTE_1 src1_sel:DWORD
	s_mov_b32 s11, 0
	s_and_saveexec_b32 s25, s24
	s_xor_b32 s24, exec_lo, s25
	s_cbranch_execnz .LBB4_549
; %bb.400:                              ;   in Loop: Header=BB4_267 Depth=3
	s_or_saveexec_b32 s24, s24
	v_mov_b32_e32 v75, 0x7f800001
	s_xor_b32 exec_lo, exec_lo, s24
	s_cbranch_execnz .LBB4_552
.LBB4_401:                              ;   in Loop: Header=BB4_267 Depth=3
	s_or_b32 exec_lo, exec_lo, s24
	s_and_saveexec_b32 s24, s11
	s_cbranch_execz .LBB4_403
.LBB4_402:                              ;   in Loop: Header=BB4_267 Depth=3
	v_and_b32_sdwa v75, v42, v74 dst_sel:DWORD dst_unused:UNUSED_PAD src0_sel:DWORD src1_sel:BYTE_1
	v_and_b32_e32 v76, 7, v75
	v_bfe_u32 v79, v75, 3, 4
	v_ffbh_u32_e32 v77, v76
	v_cmp_eq_u32_e32 vcc_lo, 0, v79
	v_min_u32_e32 v77, 32, v77
	v_subrev_nc_u32_e32 v78, 28, v77
	v_sub_nc_u32_e32 v77, 29, v77
	v_lshlrev_b32_e32 v75, v78, v75
	v_lshlrev_b32_sdwa v78, v43, v74 dst_sel:DWORD dst_unused:UNUSED_PAD src0_sel:DWORD src1_sel:BYTE_1
	v_cndmask_b32_e32 v77, v79, v77, vcc_lo
	v_and_b32_e32 v75, 7, v75
	v_lshl_add_u32 v77, v77, 23, 0x3b800000
	v_cndmask_b32_e32 v75, v76, v75, vcc_lo
	v_and_b32_e32 v76, 0x80000000, v78
	v_lshlrev_b32_e32 v75, 20, v75
	v_or3_b32 v75, v76, v77, v75
.LBB4_403:                              ;   in Loop: Header=BB4_267 Depth=3
	s_or_b32 exec_lo, exec_lo, s24
	v_add_f32_e32 v75, v83, v75
	v_and_b32_e32 v83, 0x7f800000, v75
	v_cmp_ne_u32_e32 vcc_lo, 0x7f800000, v83
	v_mov_b32_e32 v83, 0x8000
	s_and_saveexec_b32 s24, vcc_lo
	s_cbranch_execz .LBB4_411
; %bb.404:                              ;   in Loop: Header=BB4_267 Depth=3
	v_mov_b32_e32 v83, 0
	s_mov_b32 s25, exec_lo
	v_cmpx_ne_u32_e32 0, v75
	s_cbranch_execz .LBB4_410
; %bb.405:                              ;   in Loop: Header=BB4_267 Depth=3
	v_bfe_u32 v83, v75, 23, 8
	v_and_b32_e32 v76, 0x7fffff, v75
	v_sub_nc_u32_e32 v77, 0x78, v83
	v_cmp_gt_u32_e32 vcc_lo, 0x79, v83
	v_or_b32_e32 v78, 0x800000, v76
	v_cndmask_b32_e32 v77, 0, v77, vcc_lo
	v_cmp_eq_u32_e32 vcc_lo, 0, v83
	v_add_nc_u32_e32 v83, 0xffffff89, v83
	v_cndmask_b32_e64 v77, v77, 0x77, vcc_lo
	v_cndmask_b32_e32 v76, v78, v76, vcc_lo
	v_cndmask_b32_e64 v83, v83, 0xffffff8a, vcc_lo
	v_lshl_add_u32 v78, 0x100000, v77, -1
	v_lshrrev_b32_e32 v79, v77, v76
	v_lshlrev_b32_e64 v89, v77, 0x80000
	v_add_nc_u32_e32 v77, v77, v83
	v_and_b32_e32 v76, v78, v76
	v_bfe_u32 v88, v79, 20, 1
	v_cmp_eq_u32_e64 s11, v76, v89
	v_add_nc_u32_e32 v78, -1, v88
	v_cndmask_b32_e64 v76, 0, v78, s11
	v_lshrrev_b32_e32 v78, 23, v79
	s_mov_b32 s11, exec_lo
	v_add_nc_u32_e32 v76, v76, v79
	v_xor_b32_e32 v78, 1, v78
	v_and_b32_e32 v83, 0xfffff, v76
	v_add_nc_u32_e32 v76, v83, v79
                                        ; implicit-def: $vgpr83
	v_cmpx_ne_u32_e64 v77, v78
	s_xor_b32 s11, exec_lo, s11
; %bb.406:                              ;   in Loop: Header=BB4_267 Depth=3
	v_cmp_lt_u32_e32 vcc_lo, 0xffffff, v76
	v_sub_nc_u32_e32 v83, v77, v78
	v_cndmask_b32_e64 v77, 0, 1, vcc_lo
	v_add_co_ci_u32_e64 v83, null, 0, v83, vcc_lo
	v_lshrrev_b32_e32 v76, v77, v76
; %bb.407:                              ;   in Loop: Header=BB4_267 Depth=3
	s_andn2_saveexec_b32 s11, s11
; %bb.408:                              ;   in Loop: Header=BB4_267 Depth=3
	v_bfe_u32 v83, v76, 23, 1
; %bb.409:                              ;   in Loop: Header=BB4_267 Depth=3
	s_or_b32 exec_lo, exec_lo, s11
	v_lshrrev_b32_e32 v76, 20, v76
	v_min_i32_e32 v77, 15, v83
	v_cmp_gt_i32_e32 vcc_lo, 16, v83
	v_and_b32_sdwa v75, v75, v41 dst_sel:DWORD dst_unused:UNUSED_PAD src0_sel:BYTE_3 src1_sel:DWORD
	v_lshlrev_b32_e32 v77, 3, v77
	v_cndmask_b32_e32 v76, 7, v76, vcc_lo
	v_and_b32_e32 v77, 0xf8, v77
	v_and_b32_e32 v78, 7, v76
	v_or_b32_e32 v83, v83, v76
	v_or3_b32 v75, v75, v77, v78
	v_cmp_ne_u32_e32 vcc_lo, 0, v83
	v_lshlrev_b32_e32 v75, 8, v75
	v_cndmask_b32_e32 v83, 0, v75, vcc_lo
.LBB4_410:                              ;   in Loop: Header=BB4_267 Depth=3
	s_or_b32 exec_lo, exec_lo, s25
.LBB4_411:                              ;   in Loop: Header=BB4_267 Depth=3
	s_or_b32 exec_lo, exec_lo, s24
	v_and_b32_sdwa v76, v19, v44 dst_sel:DWORD dst_unused:UNUSED_PAD src0_sel:WORD_1 src1_sel:DWORD
	s_mov_b32 s11, 0
	s_mov_b32 s24, exec_lo
	v_cmpx_lt_i16_e32 0x7f, v76
	s_xor_b32 s24, exec_lo, s24
	s_cbranch_execnz .LBB4_553
; %bb.412:                              ;   in Loop: Header=BB4_267 Depth=3
	s_or_saveexec_b32 s24, s24
	v_mov_b32_e32 v75, 0x7f800001
	s_xor_b32 exec_lo, exec_lo, s24
	s_cbranch_execnz .LBB4_556
.LBB4_413:                              ;   in Loop: Header=BB4_267 Depth=3
	s_or_b32 exec_lo, exec_lo, s24
	s_and_saveexec_b32 s24, s11
	s_cbranch_execz .LBB4_415
.LBB4_414:                              ;   in Loop: Header=BB4_267 Depth=3
	v_bfe_u32 v75, v19, 16, 3
	v_bfe_u32 v78, v19, 19, 4
	v_lshlrev_b32_e32 v79, 8, v19
	v_ffbh_u32_e32 v76, v75
	v_cmp_eq_u32_e32 vcc_lo, 0, v78
	v_min_u32_e32 v76, 32, v76
	v_subrev_nc_u32_e32 v77, 28, v76
	v_sub_nc_u32_e32 v76, 29, v76
	v_lshlrev_b32_sdwa v77, v77, v19 dst_sel:DWORD dst_unused:UNUSED_PAD src0_sel:DWORD src1_sel:WORD_1
	v_cndmask_b32_e32 v76, v78, v76, vcc_lo
	v_and_b32_e32 v77, 7, v77
	v_lshl_add_u32 v76, v76, 23, 0x3b800000
	v_cndmask_b32_e32 v75, v75, v77, vcc_lo
	v_and_b32_e32 v77, 0x80000000, v79
	v_lshlrev_b32_e32 v75, 20, v75
	v_or3_b32 v75, v77, v76, v75
.LBB4_415:                              ;   in Loop: Header=BB4_267 Depth=3
	s_or_b32 exec_lo, exec_lo, s24
	v_or_b32_e32 v96, v73, v96
	s_mov_b32 s11, 0
	v_cmp_gt_i16_sdwa s24, v96, v40 src0_sel:BYTE_0 src1_sel:DWORD
	s_and_saveexec_b32 s25, s24
	s_xor_b32 s24, exec_lo, s25
	s_cbranch_execnz .LBB4_557
; %bb.416:                              ;   in Loop: Header=BB4_267 Depth=3
	s_or_saveexec_b32 s24, s24
	v_mov_b32_e32 v76, 0x7f800001
	s_xor_b32 exec_lo, exec_lo, s24
	s_cbranch_execnz .LBB4_560
.LBB4_417:                              ;   in Loop: Header=BB4_267 Depth=3
	s_or_b32 exec_lo, exec_lo, s24
	v_lshl_or_b32 v73, v96, 16, v74
	s_and_saveexec_b32 s24, s11
	s_cbranch_execz .LBB4_419
.LBB4_418:                              ;   in Loop: Header=BB4_267 Depth=3
	v_bfe_u32 v96, v73, 16, 3
	v_bfe_u32 v77, v73, 19, 4
	v_lshlrev_b32_e32 v78, 8, v73
	v_ffbh_u32_e32 v74, v96
	v_cmp_eq_u32_e32 vcc_lo, 0, v77
	v_min_u32_e32 v74, 32, v74
	v_subrev_nc_u32_e32 v76, 28, v74
	v_sub_nc_u32_e32 v74, 29, v74
	v_lshlrev_b32_sdwa v76, v76, v73 dst_sel:DWORD dst_unused:UNUSED_PAD src0_sel:DWORD src1_sel:WORD_1
	v_cndmask_b32_e32 v74, v77, v74, vcc_lo
	v_and_b32_e32 v76, 7, v76
	v_lshl_add_u32 v74, v74, 23, 0x3b800000
	v_cndmask_b32_e32 v96, v96, v76, vcc_lo
	v_and_b32_e32 v76, 0x80000000, v78
	v_lshlrev_b32_e32 v96, 20, v96
	v_or3_b32 v76, v76, v74, v96
.LBB4_419:                              ;   in Loop: Header=BB4_267 Depth=3
	s_or_b32 exec_lo, exec_lo, s24
	v_add_f32_e32 v74, v75, v76
	v_and_b32_e32 v96, 0x7f800000, v74
	v_cmp_ne_u32_e32 vcc_lo, 0x7f800000, v96
	v_mov_b32_e32 v96, 0x80
	s_and_saveexec_b32 s24, vcc_lo
	s_cbranch_execz .LBB4_427
; %bb.420:                              ;   in Loop: Header=BB4_267 Depth=3
	v_mov_b32_e32 v96, 0
	s_mov_b32 s25, exec_lo
	v_cmpx_ne_u32_e32 0, v74
	s_cbranch_execz .LBB4_426
; %bb.421:                              ;   in Loop: Header=BB4_267 Depth=3
	v_bfe_u32 v96, v74, 23, 8
	v_and_b32_e32 v75, 0x7fffff, v74
	v_sub_nc_u32_e32 v76, 0x78, v96
	v_cmp_gt_u32_e32 vcc_lo, 0x79, v96
	v_or_b32_e32 v77, 0x800000, v75
	v_cndmask_b32_e32 v76, 0, v76, vcc_lo
	v_cmp_eq_u32_e32 vcc_lo, 0, v96
	v_add_nc_u32_e32 v96, 0xffffff89, v96
	v_cndmask_b32_e64 v76, v76, 0x77, vcc_lo
	v_cndmask_b32_e32 v75, v77, v75, vcc_lo
	v_cndmask_b32_e64 v96, v96, 0xffffff8a, vcc_lo
	v_lshl_add_u32 v77, 0x100000, v76, -1
	v_lshrrev_b32_e32 v78, v76, v75
	v_lshlrev_b32_e64 v88, v76, 0x80000
	v_add_nc_u32_e32 v76, v76, v96
	v_and_b32_e32 v75, v77, v75
	v_bfe_u32 v79, v78, 20, 1
	v_cmp_eq_u32_e64 s11, v75, v88
	v_add_nc_u32_e32 v77, -1, v79
	v_cndmask_b32_e64 v75, 0, v77, s11
	v_lshrrev_b32_e32 v77, 23, v78
	s_mov_b32 s11, exec_lo
	v_add_nc_u32_e32 v75, v75, v78
	v_xor_b32_e32 v77, 1, v77
	v_and_b32_e32 v96, 0xfffff, v75
	v_add_nc_u32_e32 v75, v96, v78
                                        ; implicit-def: $vgpr96
	v_cmpx_ne_u32_e64 v76, v77
	s_xor_b32 s11, exec_lo, s11
; %bb.422:                              ;   in Loop: Header=BB4_267 Depth=3
	v_cmp_lt_u32_e32 vcc_lo, 0xffffff, v75
	v_sub_nc_u32_e32 v96, v76, v77
	v_cndmask_b32_e64 v76, 0, 1, vcc_lo
	v_add_co_ci_u32_e64 v96, null, 0, v96, vcc_lo
	v_lshrrev_b32_e32 v75, v76, v75
; %bb.423:                              ;   in Loop: Header=BB4_267 Depth=3
	s_andn2_saveexec_b32 s11, s11
; %bb.424:                              ;   in Loop: Header=BB4_267 Depth=3
	v_bfe_u32 v96, v75, 23, 1
; %bb.425:                              ;   in Loop: Header=BB4_267 Depth=3
	s_or_b32 exec_lo, exec_lo, s11
	v_lshrrev_b32_e32 v75, 20, v75
	v_min_i32_e32 v76, 15, v96
	v_cmp_gt_i32_e32 vcc_lo, 16, v96
	v_and_b32_sdwa v74, v74, v41 dst_sel:DWORD dst_unused:UNUSED_PAD src0_sel:BYTE_3 src1_sel:DWORD
	v_lshlrev_b32_e32 v76, 3, v76
	v_cndmask_b32_e32 v75, 7, v75, vcc_lo
	v_and_b32_e32 v76, 0xf8, v76
	v_and_b32_e32 v77, 7, v75
	v_or_b32_e32 v96, v96, v75
	v_or3_b32 v74, v76, v74, v77
	v_cmp_ne_u32_e32 vcc_lo, 0, v96
	v_cndmask_b32_e32 v96, 0, v74, vcc_lo
.LBB4_426:                              ;   in Loop: Header=BB4_267 Depth=3
	s_or_b32 exec_lo, exec_lo, s25
.LBB4_427:                              ;   in Loop: Header=BB4_267 Depth=3
	s_or_b32 exec_lo, exec_lo, s24
	v_cmp_gt_i16_sdwa s24, v19, v40 src0_sel:BYTE_3 src1_sel:DWORD
	s_mov_b32 s11, 0
	s_and_saveexec_b32 s25, s24
	s_xor_b32 s24, exec_lo, s25
	s_cbranch_execnz .LBB4_561
; %bb.428:                              ;   in Loop: Header=BB4_267 Depth=3
	s_or_saveexec_b32 s24, s24
	v_mov_b32_e32 v74, 0x7f800001
	s_xor_b32 exec_lo, exec_lo, s24
	s_cbranch_execnz .LBB4_564
.LBB4_429:                              ;   in Loop: Header=BB4_267 Depth=3
	s_or_b32 exec_lo, exec_lo, s24
	s_and_saveexec_b32 s24, s11
	s_cbranch_execz .LBB4_431
.LBB4_430:                              ;   in Loop: Header=BB4_267 Depth=3
	v_bfe_u32 v74, v19, 24, 3
	v_bfe_u32 v77, v19, 27, 4
	v_ffbh_u32_e32 v75, v74
	v_cmp_eq_u32_e32 vcc_lo, 0, v77
	v_min_u32_e32 v75, 32, v75
	v_subrev_nc_u32_e32 v76, 28, v75
	v_sub_nc_u32_e32 v75, 29, v75
	v_lshlrev_b32_sdwa v76, v76, v19 dst_sel:DWORD dst_unused:UNUSED_PAD src0_sel:DWORD src1_sel:BYTE_3
	v_cndmask_b32_e32 v75, v77, v75, vcc_lo
	v_and_b32_e32 v19, 0x80000000, v19
	v_and_b32_e32 v76, 7, v76
	v_lshl_add_u32 v75, v75, 23, 0x3b800000
	v_cndmask_b32_e32 v74, v74, v76, vcc_lo
	v_lshlrev_b32_e32 v74, 20, v74
	v_or3_b32 v74, v19, v75, v74
.LBB4_431:                              ;   in Loop: Header=BB4_267 Depth=3
	s_or_b32 exec_lo, exec_lo, s24
	v_cmp_gt_i16_sdwa s24, v73, v40 src0_sel:BYTE_3 src1_sel:DWORD
	s_mov_b32 s11, 0
	s_and_saveexec_b32 s25, s24
	s_xor_b32 s24, exec_lo, s25
	s_cbranch_execnz .LBB4_565
; %bb.432:                              ;   in Loop: Header=BB4_267 Depth=3
	s_or_saveexec_b32 s24, s24
	v_mov_b32_e32 v19, 0x7f800001
	s_xor_b32 exec_lo, exec_lo, s24
	s_cbranch_execnz .LBB4_568
.LBB4_433:                              ;   in Loop: Header=BB4_267 Depth=3
	s_or_b32 exec_lo, exec_lo, s24
	s_and_saveexec_b32 s24, s11
	s_cbranch_execz .LBB4_435
.LBB4_434:                              ;   in Loop: Header=BB4_267 Depth=3
	v_bfe_u32 v19, v73, 24, 3
	v_bfe_u32 v77, v73, 27, 4
	v_ffbh_u32_e32 v75, v19
	v_cmp_eq_u32_e32 vcc_lo, 0, v77
	v_min_u32_e32 v75, 32, v75
	v_subrev_nc_u32_e32 v76, 28, v75
	v_sub_nc_u32_e32 v75, 29, v75
	v_lshlrev_b32_sdwa v76, v76, v73 dst_sel:DWORD dst_unused:UNUSED_PAD src0_sel:DWORD src1_sel:BYTE_3
	v_cndmask_b32_e32 v75, v77, v75, vcc_lo
	v_and_b32_e32 v73, 0x80000000, v73
	v_and_b32_e32 v76, 7, v76
	v_lshl_add_u32 v75, v75, 23, 0x3b800000
	v_cndmask_b32_e32 v19, v19, v76, vcc_lo
	v_lshlrev_b32_e32 v19, 20, v19
	v_or3_b32 v19, v73, v75, v19
.LBB4_435:                              ;   in Loop: Header=BB4_267 Depth=3
	s_or_b32 exec_lo, exec_lo, s24
	v_add_f32_e32 v73, v74, v19
	v_and_b32_e32 v19, 0x7f800000, v73
	v_cmp_ne_u32_e32 vcc_lo, 0x7f800000, v19
	v_mov_b32_e32 v19, 0x8000
	s_and_saveexec_b32 s24, vcc_lo
	s_cbranch_execz .LBB4_443
; %bb.436:                              ;   in Loop: Header=BB4_267 Depth=3
	v_mov_b32_e32 v19, 0
	s_mov_b32 s25, exec_lo
	v_cmpx_ne_u32_e32 0, v73
	s_cbranch_execz .LBB4_442
; %bb.437:                              ;   in Loop: Header=BB4_267 Depth=3
	v_bfe_u32 v19, v73, 23, 8
	v_and_b32_e32 v74, 0x7fffff, v73
	v_sub_nc_u32_e32 v75, 0x78, v19
	v_cmp_gt_u32_e32 vcc_lo, 0x79, v19
	v_or_b32_e32 v76, 0x800000, v74
	v_cndmask_b32_e32 v75, 0, v75, vcc_lo
	v_cmp_eq_u32_e32 vcc_lo, 0, v19
	v_add_nc_u32_e32 v19, 0xffffff89, v19
	v_cndmask_b32_e64 v75, v75, 0x77, vcc_lo
	v_cndmask_b32_e32 v74, v76, v74, vcc_lo
	v_cndmask_b32_e64 v19, v19, 0xffffff8a, vcc_lo
	v_lshl_add_u32 v76, 0x100000, v75, -1
	v_lshrrev_b32_e32 v77, v75, v74
	v_lshlrev_b32_e64 v79, v75, 0x80000
	v_add_nc_u32_e32 v75, v75, v19
	v_and_b32_e32 v74, v76, v74
	v_bfe_u32 v78, v77, 20, 1
	v_cmp_eq_u32_e64 s11, v74, v79
	v_add_nc_u32_e32 v76, -1, v78
	v_cndmask_b32_e64 v74, 0, v76, s11
	v_lshrrev_b32_e32 v76, 23, v77
	s_mov_b32 s11, exec_lo
	v_add_nc_u32_e32 v74, v74, v77
	v_xor_b32_e32 v76, 1, v76
	v_and_b32_e32 v19, 0xfffff, v74
	v_add_nc_u32_e32 v74, v19, v77
                                        ; implicit-def: $vgpr19
	v_cmpx_ne_u32_e64 v75, v76
	s_xor_b32 s11, exec_lo, s11
; %bb.438:                              ;   in Loop: Header=BB4_267 Depth=3
	v_cmp_lt_u32_e32 vcc_lo, 0xffffff, v74
	v_sub_nc_u32_e32 v19, v75, v76
	v_cndmask_b32_e64 v75, 0, 1, vcc_lo
	v_add_co_ci_u32_e64 v19, null, 0, v19, vcc_lo
	v_lshrrev_b32_e32 v74, v75, v74
; %bb.439:                              ;   in Loop: Header=BB4_267 Depth=3
	s_andn2_saveexec_b32 s11, s11
; %bb.440:                              ;   in Loop: Header=BB4_267 Depth=3
	v_bfe_u32 v19, v74, 23, 1
; %bb.441:                              ;   in Loop: Header=BB4_267 Depth=3
	s_or_b32 exec_lo, exec_lo, s11
	v_lshrrev_b32_e32 v74, 20, v74
	v_min_i32_e32 v75, 15, v19
	v_cmp_gt_i32_e32 vcc_lo, 16, v19
	v_and_b32_sdwa v73, v73, v41 dst_sel:DWORD dst_unused:UNUSED_PAD src0_sel:BYTE_3 src1_sel:DWORD
	v_lshlrev_b32_e32 v75, 3, v75
	v_cndmask_b32_e32 v74, 7, v74, vcc_lo
	v_and_b32_e32 v75, 0xf8, v75
	v_and_b32_e32 v76, 7, v74
	v_or_b32_e32 v19, v19, v74
	v_or3_b32 v73, v73, v75, v76
	v_cmp_ne_u32_e32 vcc_lo, 0, v19
	v_lshlrev_b32_e32 v73, 8, v73
	v_cndmask_b32_e32 v19, 0, v73, vcc_lo
.LBB4_442:                              ;   in Loop: Header=BB4_267 Depth=3
	s_or_b32 exec_lo, exec_lo, s25
.LBB4_443:                              ;   in Loop: Header=BB4_267 Depth=3
	s_or_b32 exec_lo, exec_lo, s24
	v_cmp_gt_i16_sdwa s24, v21, v40 src0_sel:BYTE_0 src1_sel:DWORD
	s_mov_b32 s11, 0
	s_and_saveexec_b32 s25, s24
	s_xor_b32 s24, exec_lo, s25
	s_cbranch_execnz .LBB4_569
; %bb.444:                              ;   in Loop: Header=BB4_267 Depth=3
	s_or_saveexec_b32 s24, s24
	v_mov_b32_e32 v73, 0x7f800001
	s_xor_b32 exec_lo, exec_lo, s24
	s_cbranch_execnz .LBB4_572
.LBB4_445:                              ;   in Loop: Header=BB4_267 Depth=3
	s_or_b32 exec_lo, exec_lo, s24
	s_and_saveexec_b32 s24, s11
	s_cbranch_execz .LBB4_447
.LBB4_446:                              ;   in Loop: Header=BB4_267 Depth=3
	v_and_b32_e32 v73, 7, v21
	v_bfe_u32 v76, v21, 3, 4
	v_lshlrev_b32_e32 v77, 24, v21
	v_ffbh_u32_e32 v74, v73
	v_cmp_eq_u32_e32 vcc_lo, 0, v76
	v_min_u32_e32 v74, 32, v74
	v_subrev_nc_u32_e32 v75, 28, v74
	v_sub_nc_u32_e32 v74, 29, v74
	v_lshlrev_b32_e32 v75, v75, v21
	v_cndmask_b32_e32 v74, v76, v74, vcc_lo
	v_and_b32_e32 v75, 7, v75
	v_lshl_add_u32 v74, v74, 23, 0x3b800000
	v_cndmask_b32_e32 v73, v73, v75, vcc_lo
	v_and_b32_e32 v75, 0x80000000, v77
	v_lshlrev_b32_e32 v73, 20, v73
	v_or3_b32 v73, v75, v74, v73
.LBB4_447:                              ;   in Loop: Header=BB4_267 Depth=3
	s_or_b32 exec_lo, exec_lo, s24
	v_or_b32_e32 v97, v97, v22
	s_mov_b32 s11, 0
	v_cmp_gt_i16_sdwa s24, v97, v40 src0_sel:BYTE_0 src1_sel:DWORD
	s_and_saveexec_b32 s25, s24
	s_xor_b32 s24, exec_lo, s25
	s_cbranch_execnz .LBB4_573
; %bb.448:                              ;   in Loop: Header=BB4_267 Depth=3
	s_or_saveexec_b32 s24, s24
	v_mov_b32_e32 v22, 0x7f800001
	s_xor_b32 exec_lo, exec_lo, s24
	s_cbranch_execnz .LBB4_576
.LBB4_449:                              ;   in Loop: Header=BB4_267 Depth=3
	s_or_b32 exec_lo, exec_lo, s24
	s_and_saveexec_b32 s24, s11
	s_cbranch_execz .LBB4_451
.LBB4_450:                              ;   in Loop: Header=BB4_267 Depth=3
	v_and_b32_e32 v22, 7, v97
	v_bfe_u32 v76, v97, 3, 4
	v_lshlrev_b32_e32 v77, 24, v97
	v_ffbh_u32_e32 v74, v22
	v_cmp_eq_u32_e32 vcc_lo, 0, v76
	v_min_u32_e32 v74, 32, v74
	v_subrev_nc_u32_e32 v75, 28, v74
	v_sub_nc_u32_e32 v74, 29, v74
	v_lshlrev_b32_e32 v75, v75, v97
	v_cndmask_b32_e32 v74, v76, v74, vcc_lo
	v_and_b32_e32 v75, 7, v75
	v_lshl_add_u32 v74, v74, 23, 0x3b800000
	v_cndmask_b32_e32 v22, v22, v75, vcc_lo
	v_and_b32_e32 v75, 0x80000000, v77
	v_lshlrev_b32_e32 v22, 20, v22
	v_or3_b32 v22, v75, v74, v22
.LBB4_451:                              ;   in Loop: Header=BB4_267 Depth=3
	s_or_b32 exec_lo, exec_lo, s24
	v_add_f32_e32 v73, v73, v22
	v_and_b32_e32 v22, 0x7f800000, v73
	v_cmp_ne_u32_e32 vcc_lo, 0x7f800000, v22
	v_mov_b32_e32 v22, 0x80
	s_and_saveexec_b32 s24, vcc_lo
	s_cbranch_execz .LBB4_459
; %bb.452:                              ;   in Loop: Header=BB4_267 Depth=3
	v_mov_b32_e32 v22, 0
	s_mov_b32 s25, exec_lo
	v_cmpx_ne_u32_e32 0, v73
	s_cbranch_execz .LBB4_458
; %bb.453:                              ;   in Loop: Header=BB4_267 Depth=3
	v_bfe_u32 v22, v73, 23, 8
	v_and_b32_e32 v74, 0x7fffff, v73
	v_sub_nc_u32_e32 v75, 0x78, v22
	v_cmp_gt_u32_e32 vcc_lo, 0x79, v22
	v_or_b32_e32 v76, 0x800000, v74
	v_cndmask_b32_e32 v75, 0, v75, vcc_lo
	v_cmp_eq_u32_e32 vcc_lo, 0, v22
	v_add_nc_u32_e32 v22, 0xffffff89, v22
	v_cndmask_b32_e64 v75, v75, 0x77, vcc_lo
	v_cndmask_b32_e32 v74, v76, v74, vcc_lo
	v_cndmask_b32_e64 v22, v22, 0xffffff8a, vcc_lo
	v_lshl_add_u32 v76, 0x100000, v75, -1
	v_lshrrev_b32_e32 v77, v75, v74
	v_lshlrev_b32_e64 v79, v75, 0x80000
	v_add_nc_u32_e32 v75, v75, v22
	v_and_b32_e32 v74, v76, v74
	v_bfe_u32 v78, v77, 20, 1
	v_cmp_eq_u32_e64 s11, v74, v79
	v_add_nc_u32_e32 v76, -1, v78
	v_cndmask_b32_e64 v74, 0, v76, s11
	v_lshrrev_b32_e32 v76, 23, v77
	s_mov_b32 s11, exec_lo
	v_add_nc_u32_e32 v74, v74, v77
	v_xor_b32_e32 v76, 1, v76
	v_and_b32_e32 v22, 0xfffff, v74
	v_add_nc_u32_e32 v74, v22, v77
                                        ; implicit-def: $vgpr22
	v_cmpx_ne_u32_e64 v75, v76
	s_xor_b32 s11, exec_lo, s11
; %bb.454:                              ;   in Loop: Header=BB4_267 Depth=3
	v_cmp_lt_u32_e32 vcc_lo, 0xffffff, v74
	v_sub_nc_u32_e32 v22, v75, v76
	v_cndmask_b32_e64 v75, 0, 1, vcc_lo
	v_add_co_ci_u32_e64 v22, null, 0, v22, vcc_lo
	v_lshrrev_b32_e32 v74, v75, v74
; %bb.455:                              ;   in Loop: Header=BB4_267 Depth=3
	s_andn2_saveexec_b32 s11, s11
; %bb.456:                              ;   in Loop: Header=BB4_267 Depth=3
	v_bfe_u32 v22, v74, 23, 1
; %bb.457:                              ;   in Loop: Header=BB4_267 Depth=3
	s_or_b32 exec_lo, exec_lo, s11
	v_lshrrev_b32_e32 v74, 20, v74
	v_min_i32_e32 v75, 15, v22
	v_cmp_gt_i32_e32 vcc_lo, 16, v22
	v_and_b32_sdwa v73, v73, v41 dst_sel:DWORD dst_unused:UNUSED_PAD src0_sel:BYTE_3 src1_sel:DWORD
	v_lshlrev_b32_e32 v75, 3, v75
	v_cndmask_b32_e32 v74, 7, v74, vcc_lo
	v_and_b32_e32 v75, 0xf8, v75
	v_and_b32_e32 v76, 7, v74
	v_or_b32_e32 v22, v22, v74
	v_or3_b32 v73, v75, v73, v76
	v_cmp_ne_u32_e32 vcc_lo, 0, v22
	v_cndmask_b32_e32 v22, 0, v73, vcc_lo
.LBB4_458:                              ;   in Loop: Header=BB4_267 Depth=3
	s_or_b32 exec_lo, exec_lo, s25
.LBB4_459:                              ;   in Loop: Header=BB4_267 Depth=3
	s_or_b32 exec_lo, exec_lo, s24
	v_cmp_gt_i16_sdwa s24, v21, v40 src0_sel:BYTE_1 src1_sel:DWORD
	s_mov_b32 s11, 0
	s_and_saveexec_b32 s25, s24
	s_xor_b32 s24, exec_lo, s25
	s_cbranch_execnz .LBB4_577
; %bb.460:                              ;   in Loop: Header=BB4_267 Depth=3
	s_or_saveexec_b32 s24, s24
	v_mov_b32_e32 v73, 0x7f800001
	s_xor_b32 exec_lo, exec_lo, s24
	s_cbranch_execnz .LBB4_580
.LBB4_461:                              ;   in Loop: Header=BB4_267 Depth=3
	s_or_b32 exec_lo, exec_lo, s24
	s_and_saveexec_b32 s24, s11
	s_cbranch_execz .LBB4_463
.LBB4_462:                              ;   in Loop: Header=BB4_267 Depth=3
	v_and_b32_sdwa v73, v42, v21 dst_sel:DWORD dst_unused:UNUSED_PAD src0_sel:DWORD src1_sel:BYTE_1
	v_and_b32_e32 v74, 7, v73
	v_bfe_u32 v77, v73, 3, 4
	v_ffbh_u32_e32 v75, v74
	v_cmp_eq_u32_e32 vcc_lo, 0, v77
	v_min_u32_e32 v75, 32, v75
	v_subrev_nc_u32_e32 v76, 28, v75
	v_sub_nc_u32_e32 v75, 29, v75
	v_lshlrev_b32_e32 v73, v76, v73
	v_lshlrev_b32_sdwa v76, v43, v21 dst_sel:DWORD dst_unused:UNUSED_PAD src0_sel:DWORD src1_sel:BYTE_1
	v_cndmask_b32_e32 v75, v77, v75, vcc_lo
	v_and_b32_e32 v73, 7, v73
	v_lshl_add_u32 v75, v75, 23, 0x3b800000
	v_cndmask_b32_e32 v73, v74, v73, vcc_lo
	v_and_b32_e32 v74, 0x80000000, v76
	v_lshlrev_b32_e32 v73, 20, v73
	v_or3_b32 v73, v74, v75, v73
.LBB4_463:                              ;   in Loop: Header=BB4_267 Depth=3
	s_or_b32 exec_lo, exec_lo, s24
	v_cmp_gt_i16_sdwa s24, v97, v40 src0_sel:BYTE_1 src1_sel:DWORD
	s_mov_b32 s11, 0
	s_and_saveexec_b32 s25, s24
	s_xor_b32 s24, exec_lo, s25
	s_cbranch_execnz .LBB4_581
; %bb.464:                              ;   in Loop: Header=BB4_267 Depth=3
	s_or_saveexec_b32 s24, s24
	v_mov_b32_e32 v74, 0x7f800001
	s_xor_b32 exec_lo, exec_lo, s24
	s_cbranch_execnz .LBB4_584
.LBB4_465:                              ;   in Loop: Header=BB4_267 Depth=3
	s_or_b32 exec_lo, exec_lo, s24
	s_and_saveexec_b32 s24, s11
	s_cbranch_execz .LBB4_467
.LBB4_466:                              ;   in Loop: Header=BB4_267 Depth=3
	v_and_b32_sdwa v74, v42, v97 dst_sel:DWORD dst_unused:UNUSED_PAD src0_sel:DWORD src1_sel:BYTE_1
	v_and_b32_e32 v75, 7, v74
	v_bfe_u32 v78, v74, 3, 4
	v_ffbh_u32_e32 v76, v75
	v_cmp_eq_u32_e32 vcc_lo, 0, v78
	v_min_u32_e32 v76, 32, v76
	v_subrev_nc_u32_e32 v77, 28, v76
	v_sub_nc_u32_e32 v76, 29, v76
	v_lshlrev_b32_e32 v74, v77, v74
	v_lshlrev_b32_sdwa v77, v43, v97 dst_sel:DWORD dst_unused:UNUSED_PAD src0_sel:DWORD src1_sel:BYTE_1
	v_cndmask_b32_e32 v76, v78, v76, vcc_lo
	v_and_b32_e32 v74, 7, v74
	v_lshl_add_u32 v76, v76, 23, 0x3b800000
	v_cndmask_b32_e32 v74, v75, v74, vcc_lo
	v_and_b32_e32 v75, 0x80000000, v77
	v_lshlrev_b32_e32 v74, 20, v74
	v_or3_b32 v74, v75, v76, v74
.LBB4_467:                              ;   in Loop: Header=BB4_267 Depth=3
	s_or_b32 exec_lo, exec_lo, s24
	v_add_f32_e32 v74, v73, v74
	v_and_b32_e32 v73, 0x7f800000, v74
	v_cmp_ne_u32_e32 vcc_lo, 0x7f800000, v73
	v_mov_b32_e32 v73, 0x8000
	s_and_saveexec_b32 s24, vcc_lo
	s_cbranch_execz .LBB4_475
; %bb.468:                              ;   in Loop: Header=BB4_267 Depth=3
	v_mov_b32_e32 v73, 0
	s_mov_b32 s25, exec_lo
	v_cmpx_ne_u32_e32 0, v74
	s_cbranch_execz .LBB4_474
; %bb.469:                              ;   in Loop: Header=BB4_267 Depth=3
	v_bfe_u32 v73, v74, 23, 8
	v_and_b32_e32 v75, 0x7fffff, v74
	v_sub_nc_u32_e32 v76, 0x78, v73
	v_cmp_gt_u32_e32 vcc_lo, 0x79, v73
	v_or_b32_e32 v77, 0x800000, v75
	v_cndmask_b32_e32 v76, 0, v76, vcc_lo
	v_cmp_eq_u32_e32 vcc_lo, 0, v73
	v_add_nc_u32_e32 v73, 0xffffff89, v73
	v_cndmask_b32_e64 v76, v76, 0x77, vcc_lo
	v_cndmask_b32_e32 v75, v77, v75, vcc_lo
	v_cndmask_b32_e64 v73, v73, 0xffffff8a, vcc_lo
	v_lshl_add_u32 v77, 0x100000, v76, -1
	v_lshrrev_b32_e32 v78, v76, v75
	v_lshlrev_b32_e64 v88, v76, 0x80000
	v_add_nc_u32_e32 v76, v76, v73
	v_and_b32_e32 v75, v77, v75
	v_bfe_u32 v79, v78, 20, 1
	v_cmp_eq_u32_e64 s11, v75, v88
	v_add_nc_u32_e32 v77, -1, v79
	v_cndmask_b32_e64 v75, 0, v77, s11
	v_lshrrev_b32_e32 v77, 23, v78
	s_mov_b32 s11, exec_lo
	v_add_nc_u32_e32 v75, v75, v78
	v_xor_b32_e32 v77, 1, v77
	v_and_b32_e32 v73, 0xfffff, v75
	v_add_nc_u32_e32 v75, v73, v78
                                        ; implicit-def: $vgpr73
	v_cmpx_ne_u32_e64 v76, v77
	s_xor_b32 s11, exec_lo, s11
; %bb.470:                              ;   in Loop: Header=BB4_267 Depth=3
	v_cmp_lt_u32_e32 vcc_lo, 0xffffff, v75
	v_sub_nc_u32_e32 v73, v76, v77
	v_cndmask_b32_e64 v76, 0, 1, vcc_lo
	v_add_co_ci_u32_e64 v73, null, 0, v73, vcc_lo
	v_lshrrev_b32_e32 v75, v76, v75
; %bb.471:                              ;   in Loop: Header=BB4_267 Depth=3
	s_andn2_saveexec_b32 s11, s11
; %bb.472:                              ;   in Loop: Header=BB4_267 Depth=3
	v_bfe_u32 v73, v75, 23, 1
; %bb.473:                              ;   in Loop: Header=BB4_267 Depth=3
	s_or_b32 exec_lo, exec_lo, s11
	v_lshrrev_b32_e32 v75, 20, v75
	v_min_i32_e32 v76, 15, v73
	v_cmp_gt_i32_e32 vcc_lo, 16, v73
	v_and_b32_sdwa v74, v74, v41 dst_sel:DWORD dst_unused:UNUSED_PAD src0_sel:BYTE_3 src1_sel:DWORD
	v_lshlrev_b32_e32 v76, 3, v76
	v_cndmask_b32_e32 v75, 7, v75, vcc_lo
	v_and_b32_e32 v76, 0xf8, v76
	v_and_b32_e32 v77, 7, v75
	v_or_b32_e32 v73, v73, v75
	v_or3_b32 v74, v74, v76, v77
	v_cmp_ne_u32_e32 vcc_lo, 0, v73
	v_lshlrev_b32_e32 v74, 8, v74
	v_cndmask_b32_e32 v73, 0, v74, vcc_lo
.LBB4_474:                              ;   in Loop: Header=BB4_267 Depth=3
	s_or_b32 exec_lo, exec_lo, s25
.LBB4_475:                              ;   in Loop: Header=BB4_267 Depth=3
	s_or_b32 exec_lo, exec_lo, s24
	v_and_b32_sdwa v75, v21, v44 dst_sel:DWORD dst_unused:UNUSED_PAD src0_sel:WORD_1 src1_sel:DWORD
	s_mov_b32 s11, 0
	s_mov_b32 s24, exec_lo
	v_cmpx_lt_i16_e32 0x7f, v75
	s_xor_b32 s24, exec_lo, s24
	s_cbranch_execnz .LBB4_585
; %bb.476:                              ;   in Loop: Header=BB4_267 Depth=3
	s_or_saveexec_b32 s24, s24
	v_mov_b32_e32 v74, 0x7f800001
	s_xor_b32 exec_lo, exec_lo, s24
	s_cbranch_execnz .LBB4_588
.LBB4_477:                              ;   in Loop: Header=BB4_267 Depth=3
	s_or_b32 exec_lo, exec_lo, s24
	s_and_saveexec_b32 s24, s11
	s_cbranch_execz .LBB4_479
.LBB4_478:                              ;   in Loop: Header=BB4_267 Depth=3
	v_bfe_u32 v74, v21, 16, 3
	v_bfe_u32 v77, v21, 19, 4
	v_lshlrev_b32_e32 v78, 8, v21
	v_ffbh_u32_e32 v75, v74
	v_cmp_eq_u32_e32 vcc_lo, 0, v77
	v_min_u32_e32 v75, 32, v75
	v_subrev_nc_u32_e32 v76, 28, v75
	v_sub_nc_u32_e32 v75, 29, v75
	v_lshlrev_b32_sdwa v76, v76, v21 dst_sel:DWORD dst_unused:UNUSED_PAD src0_sel:DWORD src1_sel:WORD_1
	v_cndmask_b32_e32 v75, v77, v75, vcc_lo
	v_and_b32_e32 v76, 7, v76
	v_lshl_add_u32 v75, v75, 23, 0x3b800000
	v_cndmask_b32_e32 v74, v74, v76, vcc_lo
	v_and_b32_e32 v76, 0x80000000, v78
	v_lshlrev_b32_e32 v74, 20, v74
	v_or3_b32 v74, v76, v75, v74
.LBB4_479:                              ;   in Loop: Header=BB4_267 Depth=3
	s_or_b32 exec_lo, exec_lo, s24
	v_or_b32_e32 v20, v54, v20
	s_mov_b32 s11, 0
	v_cmp_gt_i16_sdwa s24, v20, v40 src0_sel:BYTE_0 src1_sel:DWORD
	s_and_saveexec_b32 s25, s24
	s_xor_b32 s24, exec_lo, s25
	s_cbranch_execnz .LBB4_589
; %bb.480:                              ;   in Loop: Header=BB4_267 Depth=3
	s_or_saveexec_b32 s24, s24
	v_mov_b32_e32 v75, 0x7f800001
	s_xor_b32 exec_lo, exec_lo, s24
	s_cbranch_execnz .LBB4_592
.LBB4_481:                              ;   in Loop: Header=BB4_267 Depth=3
	s_or_b32 exec_lo, exec_lo, s24
	v_lshl_or_b32 v54, v20, 16, v97
	s_and_saveexec_b32 s24, s11
	s_cbranch_execz .LBB4_483
.LBB4_482:                              ;   in Loop: Header=BB4_267 Depth=3
	v_bfe_u32 v20, v54, 16, 3
	v_bfe_u32 v76, v54, 19, 4
	v_lshlrev_b32_e32 v77, 8, v54
	v_ffbh_u32_e32 v97, v20
	v_cmp_eq_u32_e32 vcc_lo, 0, v76
	v_min_u32_e32 v97, 32, v97
	v_subrev_nc_u32_e32 v75, 28, v97
	v_sub_nc_u32_e32 v97, 29, v97
	v_lshlrev_b32_sdwa v75, v75, v54 dst_sel:DWORD dst_unused:UNUSED_PAD src0_sel:DWORD src1_sel:WORD_1
	v_cndmask_b32_e32 v97, v76, v97, vcc_lo
	v_and_b32_e32 v75, 7, v75
	v_lshl_add_u32 v97, v97, 23, 0x3b800000
	v_cndmask_b32_e32 v20, v20, v75, vcc_lo
	v_and_b32_e32 v75, 0x80000000, v77
	v_lshlrev_b32_e32 v20, 20, v20
	v_or3_b32 v75, v75, v97, v20
.LBB4_483:                              ;   in Loop: Header=BB4_267 Depth=3
	s_or_b32 exec_lo, exec_lo, s24
	v_add_f32_e32 v97, v74, v75
	v_and_b32_e32 v20, 0x7f800000, v97
	v_cmp_ne_u32_e32 vcc_lo, 0x7f800000, v20
	v_mov_b32_e32 v20, 0x80
	s_and_saveexec_b32 s24, vcc_lo
	s_cbranch_execz .LBB4_491
; %bb.484:                              ;   in Loop: Header=BB4_267 Depth=3
	v_mov_b32_e32 v20, 0
	s_mov_b32 s25, exec_lo
	v_cmpx_ne_u32_e32 0, v97
	s_cbranch_execz .LBB4_490
; %bb.485:                              ;   in Loop: Header=BB4_267 Depth=3
	v_bfe_u32 v20, v97, 23, 8
	v_and_b32_e32 v74, 0x7fffff, v97
	v_sub_nc_u32_e32 v75, 0x78, v20
	v_cmp_gt_u32_e32 vcc_lo, 0x79, v20
	v_or_b32_e32 v76, 0x800000, v74
	v_cndmask_b32_e32 v75, 0, v75, vcc_lo
	v_cmp_eq_u32_e32 vcc_lo, 0, v20
	v_add_nc_u32_e32 v20, 0xffffff89, v20
	v_cndmask_b32_e64 v75, v75, 0x77, vcc_lo
	v_cndmask_b32_e32 v74, v76, v74, vcc_lo
	v_cndmask_b32_e64 v20, v20, 0xffffff8a, vcc_lo
	v_lshl_add_u32 v76, 0x100000, v75, -1
	v_lshrrev_b32_e32 v77, v75, v74
	v_lshlrev_b32_e64 v79, v75, 0x80000
	v_add_nc_u32_e32 v75, v75, v20
	v_and_b32_e32 v74, v76, v74
	v_bfe_u32 v78, v77, 20, 1
	v_cmp_eq_u32_e64 s11, v74, v79
	v_add_nc_u32_e32 v76, -1, v78
	v_cndmask_b32_e64 v74, 0, v76, s11
	v_lshrrev_b32_e32 v76, 23, v77
	s_mov_b32 s11, exec_lo
	v_add_nc_u32_e32 v74, v74, v77
	v_xor_b32_e32 v76, 1, v76
	v_and_b32_e32 v20, 0xfffff, v74
	v_add_nc_u32_e32 v74, v20, v77
                                        ; implicit-def: $vgpr20
	v_cmpx_ne_u32_e64 v75, v76
	s_xor_b32 s11, exec_lo, s11
; %bb.486:                              ;   in Loop: Header=BB4_267 Depth=3
	v_cmp_lt_u32_e32 vcc_lo, 0xffffff, v74
	v_sub_nc_u32_e32 v20, v75, v76
	v_cndmask_b32_e64 v75, 0, 1, vcc_lo
	v_add_co_ci_u32_e64 v20, null, 0, v20, vcc_lo
	v_lshrrev_b32_e32 v74, v75, v74
; %bb.487:                              ;   in Loop: Header=BB4_267 Depth=3
	s_andn2_saveexec_b32 s11, s11
; %bb.488:                              ;   in Loop: Header=BB4_267 Depth=3
	v_bfe_u32 v20, v74, 23, 1
; %bb.489:                              ;   in Loop: Header=BB4_267 Depth=3
	s_or_b32 exec_lo, exec_lo, s11
	v_lshrrev_b32_e32 v74, 20, v74
	v_min_i32_e32 v75, 15, v20
	v_cmp_gt_i32_e32 vcc_lo, 16, v20
	v_and_b32_sdwa v97, v97, v41 dst_sel:DWORD dst_unused:UNUSED_PAD src0_sel:BYTE_3 src1_sel:DWORD
	v_lshlrev_b32_e32 v75, 3, v75
	v_cndmask_b32_e32 v74, 7, v74, vcc_lo
	v_and_b32_e32 v75, 0xf8, v75
	v_and_b32_e32 v76, 7, v74
	v_or_b32_e32 v20, v20, v74
	v_or3_b32 v97, v75, v97, v76
	v_cmp_ne_u32_e32 vcc_lo, 0, v20
	v_cndmask_b32_e32 v20, 0, v97, vcc_lo
.LBB4_490:                              ;   in Loop: Header=BB4_267 Depth=3
	s_or_b32 exec_lo, exec_lo, s25
.LBB4_491:                              ;   in Loop: Header=BB4_267 Depth=3
	s_or_b32 exec_lo, exec_lo, s24
	v_cmp_gt_i16_sdwa s24, v21, v40 src0_sel:BYTE_3 src1_sel:DWORD
	s_mov_b32 s11, 0
	s_and_saveexec_b32 s25, s24
	s_xor_b32 s24, exec_lo, s25
	s_cbranch_execnz .LBB4_593
; %bb.492:                              ;   in Loop: Header=BB4_267 Depth=3
	s_or_saveexec_b32 s24, s24
	v_mov_b32_e32 v97, 0x7f800001
	s_xor_b32 exec_lo, exec_lo, s24
	s_cbranch_execnz .LBB4_596
.LBB4_493:                              ;   in Loop: Header=BB4_267 Depth=3
	s_or_b32 exec_lo, exec_lo, s24
	s_and_saveexec_b32 s24, s11
	s_cbranch_execz .LBB4_495
.LBB4_494:                              ;   in Loop: Header=BB4_267 Depth=3
	v_bfe_u32 v97, v21, 24, 3
	v_bfe_u32 v76, v21, 27, 4
	v_ffbh_u32_e32 v74, v97
	v_cmp_eq_u32_e32 vcc_lo, 0, v76
	v_min_u32_e32 v74, 32, v74
	v_subrev_nc_u32_e32 v75, 28, v74
	v_sub_nc_u32_e32 v74, 29, v74
	v_lshlrev_b32_sdwa v75, v75, v21 dst_sel:DWORD dst_unused:UNUSED_PAD src0_sel:DWORD src1_sel:BYTE_3
	v_cndmask_b32_e32 v74, v76, v74, vcc_lo
	v_and_b32_e32 v21, 0x80000000, v21
	v_and_b32_e32 v75, 7, v75
	v_lshl_add_u32 v74, v74, 23, 0x3b800000
	v_cndmask_b32_e32 v97, v97, v75, vcc_lo
	v_lshlrev_b32_e32 v97, 20, v97
	v_or3_b32 v97, v21, v74, v97
.LBB4_495:                              ;   in Loop: Header=BB4_267 Depth=3
	s_or_b32 exec_lo, exec_lo, s24
	v_cmp_gt_i16_sdwa s24, v54, v40 src0_sel:BYTE_3 src1_sel:DWORD
	s_mov_b32 s11, 0
	s_and_saveexec_b32 s25, s24
	s_xor_b32 s24, exec_lo, s25
	s_cbranch_execnz .LBB4_597
; %bb.496:                              ;   in Loop: Header=BB4_267 Depth=3
	s_or_saveexec_b32 s24, s24
	v_mov_b32_e32 v21, 0x7f800001
	s_xor_b32 exec_lo, exec_lo, s24
	s_cbranch_execnz .LBB4_600
.LBB4_497:                              ;   in Loop: Header=BB4_267 Depth=3
	s_or_b32 exec_lo, exec_lo, s24
	s_and_saveexec_b32 s24, s11
	s_cbranch_execz .LBB4_499
.LBB4_498:                              ;   in Loop: Header=BB4_267 Depth=3
	v_bfe_u32 v21, v54, 24, 3
	v_bfe_u32 v76, v54, 27, 4
	v_ffbh_u32_e32 v74, v21
	v_cmp_eq_u32_e32 vcc_lo, 0, v76
	v_min_u32_e32 v74, 32, v74
	v_subrev_nc_u32_e32 v75, 28, v74
	v_sub_nc_u32_e32 v74, 29, v74
	v_lshlrev_b32_sdwa v75, v75, v54 dst_sel:DWORD dst_unused:UNUSED_PAD src0_sel:DWORD src1_sel:BYTE_3
	v_cndmask_b32_e32 v74, v76, v74, vcc_lo
	v_and_b32_e32 v54, 0x80000000, v54
	v_and_b32_e32 v75, 7, v75
	v_lshl_add_u32 v74, v74, 23, 0x3b800000
	v_cndmask_b32_e32 v21, v21, v75, vcc_lo
	v_lshlrev_b32_e32 v21, 20, v21
	v_or3_b32 v21, v54, v74, v21
.LBB4_499:                              ;   in Loop: Header=BB4_267 Depth=3
	s_or_b32 exec_lo, exec_lo, s24
	v_add_f32_e32 v21, v97, v21
	v_and_b32_e32 v54, 0x7f800000, v21
	v_cmp_ne_u32_e32 vcc_lo, 0x7f800000, v54
	v_mov_b32_e32 v54, 0x8000
	s_and_saveexec_b32 s24, vcc_lo
	s_cbranch_execz .LBB4_266
; %bb.500:                              ;   in Loop: Header=BB4_267 Depth=3
	v_mov_b32_e32 v54, 0
	s_mov_b32 s25, exec_lo
	v_cmpx_ne_u32_e32 0, v21
	s_cbranch_execz .LBB4_265
; %bb.501:                              ;   in Loop: Header=BB4_267 Depth=3
	v_bfe_u32 v54, v21, 23, 8
	v_and_b32_e32 v97, 0x7fffff, v21
	v_sub_nc_u32_e32 v74, 0x78, v54
	v_cmp_gt_u32_e32 vcc_lo, 0x79, v54
	v_or_b32_e32 v75, 0x800000, v97
	v_cndmask_b32_e32 v74, 0, v74, vcc_lo
	v_cmp_eq_u32_e32 vcc_lo, 0, v54
	v_add_nc_u32_e32 v54, 0xffffff89, v54
	v_cndmask_b32_e64 v74, v74, 0x77, vcc_lo
	v_cndmask_b32_e32 v97, v75, v97, vcc_lo
	v_cndmask_b32_e64 v54, v54, 0xffffff8a, vcc_lo
	v_lshl_add_u32 v75, 0x100000, v74, -1
	v_lshrrev_b32_e32 v76, v74, v97
	v_lshlrev_b32_e64 v78, v74, 0x80000
	v_add_nc_u32_e32 v74, v74, v54
	v_and_b32_e32 v97, v75, v97
	v_bfe_u32 v77, v76, 20, 1
	v_cmp_eq_u32_e64 s11, v97, v78
	v_add_nc_u32_e32 v75, -1, v77
	v_cndmask_b32_e64 v97, 0, v75, s11
	v_lshrrev_b32_e32 v75, 23, v76
	s_mov_b32 s11, exec_lo
	v_add_nc_u32_e32 v97, v97, v76
	v_xor_b32_e32 v75, 1, v75
	v_and_b32_e32 v54, 0xfffff, v97
	v_add_nc_u32_e32 v97, v54, v76
                                        ; implicit-def: $vgpr54
	v_cmpx_ne_u32_e64 v74, v75
	s_xor_b32 s11, exec_lo, s11
; %bb.502:                              ;   in Loop: Header=BB4_267 Depth=3
	v_cmp_lt_u32_e32 vcc_lo, 0xffffff, v97
	v_sub_nc_u32_e32 v54, v74, v75
	v_cndmask_b32_e64 v74, 0, 1, vcc_lo
	v_add_co_ci_u32_e64 v54, null, 0, v54, vcc_lo
	v_lshrrev_b32_e32 v97, v74, v97
; %bb.503:                              ;   in Loop: Header=BB4_267 Depth=3
	s_andn2_saveexec_b32 s11, s11
	s_cbranch_execz .LBB4_264
; %bb.504:                              ;   in Loop: Header=BB4_267 Depth=3
	v_bfe_u32 v54, v97, 23, 1
	s_branch .LBB4_264
.LBB4_505:                              ;   in Loop: Header=BB4_267 Depth=3
	v_cmp_eq_u16_sdwa s26, v22, v41 src0_sel:BYTE_0 src1_sel:DWORD
	s_mov_b32 s11, -1
	s_and_saveexec_b32 s25, s26
; %bb.506:                              ;   in Loop: Header=BB4_267 Depth=3
	s_xor_b32 s11, exec_lo, -1
; %bb.507:                              ;   in Loop: Header=BB4_267 Depth=3
	s_or_b32 exec_lo, exec_lo, s25
	s_and_b32 s11, s11, exec_lo
	s_or_saveexec_b32 s24, s24
	v_mov_b32_e32 v17, 0x7f800001
	s_xor_b32 exec_lo, exec_lo, s24
	s_cbranch_execz .LBB4_285
.LBB4_508:                              ;   in Loop: Header=BB4_267 Depth=3
	v_cmp_ne_u16_sdwa s25, v22, v55 src0_sel:BYTE_0 src1_sel:DWORD
	v_mov_b32_e32 v17, 0
	s_andn2_b32 s11, s11, exec_lo
	s_and_b32 s25, s25, exec_lo
	s_or_b32 s11, s11, s25
	s_or_b32 exec_lo, exec_lo, s24
	s_and_saveexec_b32 s24, s11
	s_cbranch_execnz .LBB4_286
	s_branch .LBB4_287
.LBB4_509:                              ;   in Loop: Header=BB4_267 Depth=3
	v_cmp_eq_u16_sdwa s26, v22, v41 src0_sel:BYTE_1 src1_sel:DWORD
	s_mov_b32 s11, -1
	s_and_saveexec_b32 s25, s26
; %bb.510:                              ;   in Loop: Header=BB4_267 Depth=3
	s_xor_b32 s11, exec_lo, -1
; %bb.511:                              ;   in Loop: Header=BB4_267 Depth=3
	s_or_b32 exec_lo, exec_lo, s25
	s_and_b32 s11, s11, exec_lo
	s_or_saveexec_b32 s24, s24
	v_mov_b32_e32 v54, 0x7f800001
	s_xor_b32 exec_lo, exec_lo, s24
	s_cbranch_execz .LBB4_297
.LBB4_512:                              ;   in Loop: Header=BB4_267 Depth=3
	v_cmp_ne_u16_sdwa s25, v22, v55 src0_sel:BYTE_1 src1_sel:DWORD
	v_mov_b32_e32 v54, 0
	s_andn2_b32 s11, s11, exec_lo
	s_and_b32 s25, s25, exec_lo
	s_or_b32 s11, s11, s25
	s_or_b32 exec_lo, exec_lo, s24
	s_and_saveexec_b32 s24, s11
	s_cbranch_execnz .LBB4_298
	s_branch .LBB4_299
.LBB4_513:                              ;   in Loop: Header=BB4_267 Depth=3
	s_mov_b32 s11, -1
	s_mov_b32 s25, exec_lo
	v_cmpx_eq_u16_e32 0x80, v96
; %bb.514:                              ;   in Loop: Header=BB4_267 Depth=3
	s_xor_b32 s11, exec_lo, -1
; %bb.515:                              ;   in Loop: Header=BB4_267 Depth=3
	s_or_b32 exec_lo, exec_lo, s25
	s_and_b32 s11, s11, exec_lo
                                        ; implicit-def: $vgpr96
	s_or_saveexec_b32 s24, s24
	v_mov_b32_e32 v54, 0x7f800001
	s_xor_b32 exec_lo, exec_lo, s24
	s_cbranch_execz .LBB4_309
.LBB4_516:                              ;   in Loop: Header=BB4_267 Depth=3
	v_cmp_ne_u16_e32 vcc_lo, 0, v96
	v_mov_b32_e32 v54, 0
	s_andn2_b32 s11, s11, exec_lo
	s_and_b32 s25, vcc_lo, exec_lo
	s_or_b32 s11, s11, s25
	s_or_b32 exec_lo, exec_lo, s24
	s_and_saveexec_b32 s24, s11
	s_cbranch_execnz .LBB4_310
	s_branch .LBB4_311
.LBB4_517:                              ;   in Loop: Header=BB4_267 Depth=3
	v_cmp_eq_u16_sdwa s26, v22, v41 src0_sel:BYTE_3 src1_sel:DWORD
	s_mov_b32 s11, -1
	s_and_saveexec_b32 s25, s26
; %bb.518:                              ;   in Loop: Header=BB4_267 Depth=3
	s_xor_b32 s11, exec_lo, -1
; %bb.519:                              ;   in Loop: Header=BB4_267 Depth=3
	s_or_b32 exec_lo, exec_lo, s25
	s_and_b32 s11, s11, exec_lo
	s_or_saveexec_b32 s24, s24
	v_mov_b32_e32 v54, 0x7f800001
	s_xor_b32 exec_lo, exec_lo, s24
	s_cbranch_execz .LBB4_321
.LBB4_520:                              ;   in Loop: Header=BB4_267 Depth=3
	v_cmp_ne_u16_sdwa s25, v22, v55 src0_sel:BYTE_3 src1_sel:DWORD
	v_mov_b32_e32 v54, 0
	s_andn2_b32 s11, s11, exec_lo
	s_and_b32 s25, s25, exec_lo
	s_or_b32 s11, s11, s25
	s_or_b32 exec_lo, exec_lo, s24
	s_and_saveexec_b32 s24, s11
	s_cbranch_execnz .LBB4_322
	s_branch .LBB4_323
.LBB4_521:                              ;   in Loop: Header=BB4_267 Depth=3
	v_cmp_eq_u16_sdwa s26, v54, v41 src0_sel:BYTE_0 src1_sel:DWORD
	s_mov_b32 s11, -1
	s_and_saveexec_b32 s25, s26
; %bb.522:                              ;   in Loop: Header=BB4_267 Depth=3
	s_xor_b32 s11, exec_lo, -1
; %bb.523:                              ;   in Loop: Header=BB4_267 Depth=3
	s_or_b32 exec_lo, exec_lo, s25
	s_and_b32 s11, s11, exec_lo
	s_or_saveexec_b32 s24, s24
	v_mov_b32_e32 v20, 0x7f800001
	s_xor_b32 exec_lo, exec_lo, s24
	s_cbranch_execz .LBB4_333
.LBB4_524:                              ;   in Loop: Header=BB4_267 Depth=3
	v_cmp_ne_u16_sdwa s25, v54, v55 src0_sel:BYTE_0 src1_sel:DWORD
	v_mov_b32_e32 v20, 0
	s_andn2_b32 s11, s11, exec_lo
	s_and_b32 s25, s25, exec_lo
	s_or_b32 s11, s11, s25
	s_or_b32 exec_lo, exec_lo, s24
	s_and_saveexec_b32 s24, s11
	s_cbranch_execnz .LBB4_334
	s_branch .LBB4_335
.LBB4_525:                              ;   in Loop: Header=BB4_267 Depth=3
	v_cmp_eq_u16_sdwa s26, v54, v41 src0_sel:BYTE_1 src1_sel:DWORD
	s_mov_b32 s11, -1
	s_and_saveexec_b32 s25, s26
; %bb.526:                              ;   in Loop: Header=BB4_267 Depth=3
	s_xor_b32 s11, exec_lo, -1
; %bb.527:                              ;   in Loop: Header=BB4_267 Depth=3
	s_or_b32 exec_lo, exec_lo, s25
	s_and_b32 s11, s11, exec_lo
	s_or_saveexec_b32 s24, s24
	v_mov_b32_e32 v20, 0x7f800001
	s_xor_b32 exec_lo, exec_lo, s24
	s_cbranch_execz .LBB4_345
.LBB4_528:                              ;   in Loop: Header=BB4_267 Depth=3
	v_cmp_ne_u16_sdwa s25, v54, v55 src0_sel:BYTE_1 src1_sel:DWORD
	v_mov_b32_e32 v20, 0
	s_andn2_b32 s11, s11, exec_lo
	s_and_b32 s25, s25, exec_lo
	s_or_b32 s11, s11, s25
	s_or_b32 exec_lo, exec_lo, s24
	s_and_saveexec_b32 s24, s11
	s_cbranch_execnz .LBB4_346
	s_branch .LBB4_347
.LBB4_529:                              ;   in Loop: Header=BB4_267 Depth=3
	s_mov_b32 s11, -1
	s_mov_b32 s25, exec_lo
	v_cmpx_eq_u16_e32 0x80, v74
; %bb.530:                              ;   in Loop: Header=BB4_267 Depth=3
	s_xor_b32 s11, exec_lo, -1
; %bb.531:                              ;   in Loop: Header=BB4_267 Depth=3
	s_or_b32 exec_lo, exec_lo, s25
	s_and_b32 s11, s11, exec_lo
                                        ; implicit-def: $vgpr74
	s_or_saveexec_b32 s24, s24
	v_mov_b32_e32 v20, 0x7f800001
	s_xor_b32 exec_lo, exec_lo, s24
	s_cbranch_execz .LBB4_357
.LBB4_532:                              ;   in Loop: Header=BB4_267 Depth=3
	v_cmp_ne_u16_e32 vcc_lo, 0, v74
	v_mov_b32_e32 v20, 0
	s_andn2_b32 s11, s11, exec_lo
	s_and_b32 s25, vcc_lo, exec_lo
	s_or_b32 s11, s11, s25
	s_or_b32 exec_lo, exec_lo, s24
	s_and_saveexec_b32 s24, s11
	s_cbranch_execnz .LBB4_358
	s_branch .LBB4_359
.LBB4_533:                              ;   in Loop: Header=BB4_267 Depth=3
	v_cmp_eq_u16_sdwa s26, v54, v41 src0_sel:BYTE_3 src1_sel:DWORD
	s_mov_b32 s11, -1
	s_and_saveexec_b32 s25, s26
; %bb.534:                              ;   in Loop: Header=BB4_267 Depth=3
	s_xor_b32 s11, exec_lo, -1
; %bb.535:                              ;   in Loop: Header=BB4_267 Depth=3
	s_or_b32 exec_lo, exec_lo, s25
	s_and_b32 s11, s11, exec_lo
	s_or_saveexec_b32 s24, s24
	v_mov_b32_e32 v74, 0x7f800001
	s_xor_b32 exec_lo, exec_lo, s24
	s_cbranch_execz .LBB4_369
.LBB4_536:                              ;   in Loop: Header=BB4_267 Depth=3
	v_cmp_ne_u16_sdwa s25, v54, v55 src0_sel:BYTE_3 src1_sel:DWORD
	v_mov_b32_e32 v74, 0
	s_andn2_b32 s11, s11, exec_lo
	s_and_b32 s25, s25, exec_lo
	s_or_b32 s11, s11, s25
	s_or_b32 exec_lo, exec_lo, s24
	s_and_saveexec_b32 s24, s11
	s_cbranch_execnz .LBB4_370
	s_branch .LBB4_371
.LBB4_537:                              ;   in Loop: Header=BB4_267 Depth=3
	v_cmp_eq_u16_sdwa s26, v19, v41 src0_sel:BYTE_0 src1_sel:DWORD
	s_mov_b32 s11, -1
	s_and_saveexec_b32 s25, s26
; %bb.538:                              ;   in Loop: Header=BB4_267 Depth=3
	s_xor_b32 s11, exec_lo, -1
; %bb.539:                              ;   in Loop: Header=BB4_267 Depth=3
	s_or_b32 exec_lo, exec_lo, s25
	s_and_b32 s11, s11, exec_lo
	s_or_saveexec_b32 s24, s24
	v_mov_b32_e32 v75, 0x7f800001
	s_xor_b32 exec_lo, exec_lo, s24
	s_cbranch_execz .LBB4_381
.LBB4_540:                              ;   in Loop: Header=BB4_267 Depth=3
	v_cmp_ne_u16_sdwa s25, v19, v55 src0_sel:BYTE_0 src1_sel:DWORD
	v_mov_b32_e32 v75, 0
	s_andn2_b32 s11, s11, exec_lo
	s_and_b32 s25, s25, exec_lo
	s_or_b32 s11, s11, s25
	s_or_b32 exec_lo, exec_lo, s24
	s_and_saveexec_b32 s24, s11
	s_cbranch_execnz .LBB4_382
	s_branch .LBB4_383
.LBB4_541:                              ;   in Loop: Header=BB4_267 Depth=3
	v_cmp_eq_u16_sdwa s26, v74, v41 src0_sel:BYTE_0 src1_sel:DWORD
	s_mov_b32 s11, -1
	s_and_saveexec_b32 s25, s26
; %bb.542:                              ;   in Loop: Header=BB4_267 Depth=3
	s_xor_b32 s11, exec_lo, -1
; %bb.543:                              ;   in Loop: Header=BB4_267 Depth=3
	s_or_b32 exec_lo, exec_lo, s25
	s_and_b32 s11, s11, exec_lo
	s_or_saveexec_b32 s24, s24
	v_mov_b32_e32 v17, 0x7f800001
	s_xor_b32 exec_lo, exec_lo, s24
	s_cbranch_execz .LBB4_385
.LBB4_544:                              ;   in Loop: Header=BB4_267 Depth=3
	v_cmp_ne_u16_sdwa s25, v74, v55 src0_sel:BYTE_0 src1_sel:DWORD
	v_mov_b32_e32 v17, 0
	s_andn2_b32 s11, s11, exec_lo
	s_and_b32 s25, s25, exec_lo
	s_or_b32 s11, s11, s25
	s_or_b32 exec_lo, exec_lo, s24
	s_and_saveexec_b32 s24, s11
	s_cbranch_execnz .LBB4_386
	s_branch .LBB4_387
.LBB4_545:                              ;   in Loop: Header=BB4_267 Depth=3
	v_cmp_eq_u16_sdwa s26, v19, v41 src0_sel:BYTE_1 src1_sel:DWORD
	s_mov_b32 s11, -1
	s_and_saveexec_b32 s25, s26
; %bb.546:                              ;   in Loop: Header=BB4_267 Depth=3
	s_xor_b32 s11, exec_lo, -1
; %bb.547:                              ;   in Loop: Header=BB4_267 Depth=3
	s_or_b32 exec_lo, exec_lo, s25
	s_and_b32 s11, s11, exec_lo
	s_or_saveexec_b32 s24, s24
	v_mov_b32_e32 v83, 0x7f800001
	s_xor_b32 exec_lo, exec_lo, s24
	s_cbranch_execz .LBB4_397
.LBB4_548:                              ;   in Loop: Header=BB4_267 Depth=3
	v_cmp_ne_u16_sdwa s25, v19, v55 src0_sel:BYTE_1 src1_sel:DWORD
	v_mov_b32_e32 v83, 0
	s_andn2_b32 s11, s11, exec_lo
	s_and_b32 s25, s25, exec_lo
	s_or_b32 s11, s11, s25
	s_or_b32 exec_lo, exec_lo, s24
	s_and_saveexec_b32 s24, s11
	s_cbranch_execnz .LBB4_398
	s_branch .LBB4_399
.LBB4_549:                              ;   in Loop: Header=BB4_267 Depth=3
	v_cmp_eq_u16_sdwa s26, v74, v41 src0_sel:BYTE_1 src1_sel:DWORD
	s_mov_b32 s11, -1
	s_and_saveexec_b32 s25, s26
; %bb.550:                              ;   in Loop: Header=BB4_267 Depth=3
	s_xor_b32 s11, exec_lo, -1
; %bb.551:                              ;   in Loop: Header=BB4_267 Depth=3
	s_or_b32 exec_lo, exec_lo, s25
	s_and_b32 s11, s11, exec_lo
	s_or_saveexec_b32 s24, s24
	v_mov_b32_e32 v75, 0x7f800001
	s_xor_b32 exec_lo, exec_lo, s24
	s_cbranch_execz .LBB4_401
.LBB4_552:                              ;   in Loop: Header=BB4_267 Depth=3
	v_cmp_ne_u16_sdwa s25, v74, v55 src0_sel:BYTE_1 src1_sel:DWORD
	v_mov_b32_e32 v75, 0
	s_andn2_b32 s11, s11, exec_lo
	s_and_b32 s25, s25, exec_lo
	s_or_b32 s11, s11, s25
	s_or_b32 exec_lo, exec_lo, s24
	s_and_saveexec_b32 s24, s11
	s_cbranch_execnz .LBB4_402
	s_branch .LBB4_403
.LBB4_553:                              ;   in Loop: Header=BB4_267 Depth=3
	s_mov_b32 s11, -1
	s_mov_b32 s25, exec_lo
	v_cmpx_eq_u16_e32 0x80, v76
; %bb.554:                              ;   in Loop: Header=BB4_267 Depth=3
	s_xor_b32 s11, exec_lo, -1
; %bb.555:                              ;   in Loop: Header=BB4_267 Depth=3
	s_or_b32 exec_lo, exec_lo, s25
	s_and_b32 s11, s11, exec_lo
                                        ; implicit-def: $vgpr76
	s_or_saveexec_b32 s24, s24
	v_mov_b32_e32 v75, 0x7f800001
	s_xor_b32 exec_lo, exec_lo, s24
	s_cbranch_execz .LBB4_413
.LBB4_556:                              ;   in Loop: Header=BB4_267 Depth=3
	v_cmp_ne_u16_e32 vcc_lo, 0, v76
	v_mov_b32_e32 v75, 0
	s_andn2_b32 s11, s11, exec_lo
	s_and_b32 s25, vcc_lo, exec_lo
	s_or_b32 s11, s11, s25
	s_or_b32 exec_lo, exec_lo, s24
	s_and_saveexec_b32 s24, s11
	s_cbranch_execnz .LBB4_414
	s_branch .LBB4_415
.LBB4_557:                              ;   in Loop: Header=BB4_267 Depth=3
	v_cmp_eq_u16_sdwa s26, v96, v41 src0_sel:BYTE_0 src1_sel:DWORD
	s_mov_b32 s11, -1
	s_and_saveexec_b32 s25, s26
; %bb.558:                              ;   in Loop: Header=BB4_267 Depth=3
	s_xor_b32 s11, exec_lo, -1
; %bb.559:                              ;   in Loop: Header=BB4_267 Depth=3
	s_or_b32 exec_lo, exec_lo, s25
	s_and_b32 s11, s11, exec_lo
	s_or_saveexec_b32 s24, s24
	v_mov_b32_e32 v76, 0x7f800001
	s_xor_b32 exec_lo, exec_lo, s24
	s_cbranch_execz .LBB4_417
.LBB4_560:                              ;   in Loop: Header=BB4_267 Depth=3
	v_cmp_ne_u16_sdwa s25, v96, v55 src0_sel:BYTE_0 src1_sel:DWORD
	v_mov_b32_e32 v76, 0
	s_andn2_b32 s11, s11, exec_lo
	s_and_b32 s25, s25, exec_lo
	s_or_b32 s11, s11, s25
	s_or_b32 exec_lo, exec_lo, s24
	v_lshl_or_b32 v73, v96, 16, v74
	s_and_saveexec_b32 s24, s11
	s_cbranch_execnz .LBB4_418
	s_branch .LBB4_419
.LBB4_561:                              ;   in Loop: Header=BB4_267 Depth=3
	v_cmp_eq_u16_sdwa s26, v19, v41 src0_sel:BYTE_3 src1_sel:DWORD
	s_mov_b32 s11, -1
	s_and_saveexec_b32 s25, s26
; %bb.562:                              ;   in Loop: Header=BB4_267 Depth=3
	s_xor_b32 s11, exec_lo, -1
; %bb.563:                              ;   in Loop: Header=BB4_267 Depth=3
	s_or_b32 exec_lo, exec_lo, s25
	s_and_b32 s11, s11, exec_lo
	s_or_saveexec_b32 s24, s24
	v_mov_b32_e32 v74, 0x7f800001
	s_xor_b32 exec_lo, exec_lo, s24
	s_cbranch_execz .LBB4_429
.LBB4_564:                              ;   in Loop: Header=BB4_267 Depth=3
	v_cmp_ne_u16_sdwa s25, v19, v55 src0_sel:BYTE_3 src1_sel:DWORD
	v_mov_b32_e32 v74, 0
	s_andn2_b32 s11, s11, exec_lo
	s_and_b32 s25, s25, exec_lo
	s_or_b32 s11, s11, s25
	s_or_b32 exec_lo, exec_lo, s24
	s_and_saveexec_b32 s24, s11
	s_cbranch_execnz .LBB4_430
	s_branch .LBB4_431
.LBB4_565:                              ;   in Loop: Header=BB4_267 Depth=3
	v_cmp_eq_u16_sdwa s26, v73, v41 src0_sel:BYTE_3 src1_sel:DWORD
	s_mov_b32 s11, -1
	s_and_saveexec_b32 s25, s26
; %bb.566:                              ;   in Loop: Header=BB4_267 Depth=3
	s_xor_b32 s11, exec_lo, -1
; %bb.567:                              ;   in Loop: Header=BB4_267 Depth=3
	s_or_b32 exec_lo, exec_lo, s25
	s_and_b32 s11, s11, exec_lo
	s_or_saveexec_b32 s24, s24
	v_mov_b32_e32 v19, 0x7f800001
	s_xor_b32 exec_lo, exec_lo, s24
	s_cbranch_execz .LBB4_433
.LBB4_568:                              ;   in Loop: Header=BB4_267 Depth=3
	v_cmp_ne_u16_sdwa s25, v73, v55 src0_sel:BYTE_3 src1_sel:DWORD
	v_mov_b32_e32 v19, 0
	s_andn2_b32 s11, s11, exec_lo
	s_and_b32 s25, s25, exec_lo
	s_or_b32 s11, s11, s25
	s_or_b32 exec_lo, exec_lo, s24
	s_and_saveexec_b32 s24, s11
	s_cbranch_execnz .LBB4_434
	s_branch .LBB4_435
.LBB4_569:                              ;   in Loop: Header=BB4_267 Depth=3
	v_cmp_eq_u16_sdwa s26, v21, v41 src0_sel:BYTE_0 src1_sel:DWORD
	s_mov_b32 s11, -1
	s_and_saveexec_b32 s25, s26
; %bb.570:                              ;   in Loop: Header=BB4_267 Depth=3
	s_xor_b32 s11, exec_lo, -1
; %bb.571:                              ;   in Loop: Header=BB4_267 Depth=3
	s_or_b32 exec_lo, exec_lo, s25
	s_and_b32 s11, s11, exec_lo
	s_or_saveexec_b32 s24, s24
	v_mov_b32_e32 v73, 0x7f800001
	s_xor_b32 exec_lo, exec_lo, s24
	s_cbranch_execz .LBB4_445
.LBB4_572:                              ;   in Loop: Header=BB4_267 Depth=3
	v_cmp_ne_u16_sdwa s25, v21, v55 src0_sel:BYTE_0 src1_sel:DWORD
	v_mov_b32_e32 v73, 0
	s_andn2_b32 s11, s11, exec_lo
	s_and_b32 s25, s25, exec_lo
	s_or_b32 s11, s11, s25
	s_or_b32 exec_lo, exec_lo, s24
	s_and_saveexec_b32 s24, s11
	s_cbranch_execnz .LBB4_446
	s_branch .LBB4_447
.LBB4_573:                              ;   in Loop: Header=BB4_267 Depth=3
	v_cmp_eq_u16_sdwa s26, v97, v41 src0_sel:BYTE_0 src1_sel:DWORD
	s_mov_b32 s11, -1
	s_and_saveexec_b32 s25, s26
; %bb.574:                              ;   in Loop: Header=BB4_267 Depth=3
	s_xor_b32 s11, exec_lo, -1
; %bb.575:                              ;   in Loop: Header=BB4_267 Depth=3
	s_or_b32 exec_lo, exec_lo, s25
	s_and_b32 s11, s11, exec_lo
	s_or_saveexec_b32 s24, s24
	v_mov_b32_e32 v22, 0x7f800001
	s_xor_b32 exec_lo, exec_lo, s24
	s_cbranch_execz .LBB4_449
.LBB4_576:                              ;   in Loop: Header=BB4_267 Depth=3
	v_cmp_ne_u16_sdwa s25, v97, v55 src0_sel:BYTE_0 src1_sel:DWORD
	v_mov_b32_e32 v22, 0
	s_andn2_b32 s11, s11, exec_lo
	s_and_b32 s25, s25, exec_lo
	s_or_b32 s11, s11, s25
	s_or_b32 exec_lo, exec_lo, s24
	s_and_saveexec_b32 s24, s11
	s_cbranch_execnz .LBB4_450
	s_branch .LBB4_451
.LBB4_577:                              ;   in Loop: Header=BB4_267 Depth=3
	v_cmp_eq_u16_sdwa s26, v21, v41 src0_sel:BYTE_1 src1_sel:DWORD
	s_mov_b32 s11, -1
	s_and_saveexec_b32 s25, s26
; %bb.578:                              ;   in Loop: Header=BB4_267 Depth=3
	s_xor_b32 s11, exec_lo, -1
; %bb.579:                              ;   in Loop: Header=BB4_267 Depth=3
	s_or_b32 exec_lo, exec_lo, s25
	s_and_b32 s11, s11, exec_lo
	s_or_saveexec_b32 s24, s24
	v_mov_b32_e32 v73, 0x7f800001
	s_xor_b32 exec_lo, exec_lo, s24
	s_cbranch_execz .LBB4_461
.LBB4_580:                              ;   in Loop: Header=BB4_267 Depth=3
	v_cmp_ne_u16_sdwa s25, v21, v55 src0_sel:BYTE_1 src1_sel:DWORD
	v_mov_b32_e32 v73, 0
	s_andn2_b32 s11, s11, exec_lo
	s_and_b32 s25, s25, exec_lo
	s_or_b32 s11, s11, s25
	s_or_b32 exec_lo, exec_lo, s24
	s_and_saveexec_b32 s24, s11
	s_cbranch_execnz .LBB4_462
	s_branch .LBB4_463
.LBB4_581:                              ;   in Loop: Header=BB4_267 Depth=3
	v_cmp_eq_u16_sdwa s26, v97, v41 src0_sel:BYTE_1 src1_sel:DWORD
	s_mov_b32 s11, -1
	s_and_saveexec_b32 s25, s26
; %bb.582:                              ;   in Loop: Header=BB4_267 Depth=3
	s_xor_b32 s11, exec_lo, -1
; %bb.583:                              ;   in Loop: Header=BB4_267 Depth=3
	s_or_b32 exec_lo, exec_lo, s25
	s_and_b32 s11, s11, exec_lo
	s_or_saveexec_b32 s24, s24
	v_mov_b32_e32 v74, 0x7f800001
	s_xor_b32 exec_lo, exec_lo, s24
	s_cbranch_execz .LBB4_465
.LBB4_584:                              ;   in Loop: Header=BB4_267 Depth=3
	v_cmp_ne_u16_sdwa s25, v97, v55 src0_sel:BYTE_1 src1_sel:DWORD
	v_mov_b32_e32 v74, 0
	s_andn2_b32 s11, s11, exec_lo
	s_and_b32 s25, s25, exec_lo
	s_or_b32 s11, s11, s25
	s_or_b32 exec_lo, exec_lo, s24
	s_and_saveexec_b32 s24, s11
	s_cbranch_execnz .LBB4_466
	s_branch .LBB4_467
.LBB4_585:                              ;   in Loop: Header=BB4_267 Depth=3
	s_mov_b32 s11, -1
	s_mov_b32 s25, exec_lo
	v_cmpx_eq_u16_e32 0x80, v75
; %bb.586:                              ;   in Loop: Header=BB4_267 Depth=3
	s_xor_b32 s11, exec_lo, -1
; %bb.587:                              ;   in Loop: Header=BB4_267 Depth=3
	s_or_b32 exec_lo, exec_lo, s25
	s_and_b32 s11, s11, exec_lo
                                        ; implicit-def: $vgpr75
	s_or_saveexec_b32 s24, s24
	v_mov_b32_e32 v74, 0x7f800001
	s_xor_b32 exec_lo, exec_lo, s24
	s_cbranch_execz .LBB4_477
.LBB4_588:                              ;   in Loop: Header=BB4_267 Depth=3
	v_cmp_ne_u16_e32 vcc_lo, 0, v75
	v_mov_b32_e32 v74, 0
	s_andn2_b32 s11, s11, exec_lo
	s_and_b32 s25, vcc_lo, exec_lo
	s_or_b32 s11, s11, s25
	s_or_b32 exec_lo, exec_lo, s24
	s_and_saveexec_b32 s24, s11
	s_cbranch_execnz .LBB4_478
	s_branch .LBB4_479
.LBB4_589:                              ;   in Loop: Header=BB4_267 Depth=3
	v_cmp_eq_u16_sdwa s26, v20, v41 src0_sel:BYTE_0 src1_sel:DWORD
	s_mov_b32 s11, -1
	s_and_saveexec_b32 s25, s26
; %bb.590:                              ;   in Loop: Header=BB4_267 Depth=3
	s_xor_b32 s11, exec_lo, -1
; %bb.591:                              ;   in Loop: Header=BB4_267 Depth=3
	s_or_b32 exec_lo, exec_lo, s25
	s_and_b32 s11, s11, exec_lo
	s_or_saveexec_b32 s24, s24
	v_mov_b32_e32 v75, 0x7f800001
	s_xor_b32 exec_lo, exec_lo, s24
	s_cbranch_execz .LBB4_481
.LBB4_592:                              ;   in Loop: Header=BB4_267 Depth=3
	v_cmp_ne_u16_sdwa s25, v20, v55 src0_sel:BYTE_0 src1_sel:DWORD
	v_mov_b32_e32 v75, 0
	s_andn2_b32 s11, s11, exec_lo
	s_and_b32 s25, s25, exec_lo
	s_or_b32 s11, s11, s25
	s_or_b32 exec_lo, exec_lo, s24
	v_lshl_or_b32 v54, v20, 16, v97
	s_and_saveexec_b32 s24, s11
	s_cbranch_execnz .LBB4_482
	s_branch .LBB4_483
.LBB4_593:                              ;   in Loop: Header=BB4_267 Depth=3
	v_cmp_eq_u16_sdwa s26, v21, v41 src0_sel:BYTE_3 src1_sel:DWORD
	s_mov_b32 s11, -1
	s_and_saveexec_b32 s25, s26
; %bb.594:                              ;   in Loop: Header=BB4_267 Depth=3
	s_xor_b32 s11, exec_lo, -1
; %bb.595:                              ;   in Loop: Header=BB4_267 Depth=3
	s_or_b32 exec_lo, exec_lo, s25
	s_and_b32 s11, s11, exec_lo
	s_or_saveexec_b32 s24, s24
	v_mov_b32_e32 v97, 0x7f800001
	s_xor_b32 exec_lo, exec_lo, s24
	s_cbranch_execz .LBB4_493
.LBB4_596:                              ;   in Loop: Header=BB4_267 Depth=3
	v_cmp_ne_u16_sdwa s25, v21, v55 src0_sel:BYTE_3 src1_sel:DWORD
	v_mov_b32_e32 v97, 0
	s_andn2_b32 s11, s11, exec_lo
	s_and_b32 s25, s25, exec_lo
	s_or_b32 s11, s11, s25
	s_or_b32 exec_lo, exec_lo, s24
	s_and_saveexec_b32 s24, s11
	s_cbranch_execnz .LBB4_494
	s_branch .LBB4_495
.LBB4_597:                              ;   in Loop: Header=BB4_267 Depth=3
	v_cmp_eq_u16_sdwa s26, v54, v41 src0_sel:BYTE_3 src1_sel:DWORD
	s_mov_b32 s11, -1
	s_and_saveexec_b32 s25, s26
; %bb.598:                              ;   in Loop: Header=BB4_267 Depth=3
	s_xor_b32 s11, exec_lo, -1
; %bb.599:                              ;   in Loop: Header=BB4_267 Depth=3
	s_or_b32 exec_lo, exec_lo, s25
	s_and_b32 s11, s11, exec_lo
	s_or_saveexec_b32 s24, s24
	v_mov_b32_e32 v21, 0x7f800001
	s_xor_b32 exec_lo, exec_lo, s24
	s_cbranch_execz .LBB4_497
.LBB4_600:                              ;   in Loop: Header=BB4_267 Depth=3
	v_cmp_ne_u16_sdwa s25, v54, v55 src0_sel:BYTE_3 src1_sel:DWORD
	v_mov_b32_e32 v21, 0
	s_andn2_b32 s11, s11, exec_lo
	s_and_b32 s25, s25, exec_lo
	s_or_b32 s11, s11, s25
	s_or_b32 exec_lo, exec_lo, s24
	s_and_saveexec_b32 s24, s11
	s_cbranch_execnz .LBB4_498
	s_branch .LBB4_499
.LBB4_601:                              ;   in Loop: Header=BB4_221 Depth=2
	s_or_b32 exec_lo, exec_lo, s23
	s_or_b32 exec_lo, exec_lo, s12
	s_and_saveexec_b32 s11, s7
	s_cbranch_execz .LBB4_258
.LBB4_602:                              ;   in Loop: Header=BB4_221 Depth=2
	s_and_saveexec_b32 s12, s19
	s_xor_b32 s12, exec_lo, s12
	s_cbranch_execz .LBB4_617
; %bb.603:                              ;   in Loop: Header=BB4_221 Depth=2
	s_and_saveexec_b32 s23, s8
	s_cbranch_execz .LBB4_616
; %bb.604:                              ;   in Loop: Header=BB4_221 Depth=2
	s_mov_b32 s25, exec_lo
	s_mov_b32 s24, exec_lo
	v_mbcnt_lo_u32_b32 v17, s25, 0
	s_waitcnt vmcnt(0) lgkmcnt(0)
	s_waitcnt_vscnt null, 0x0
	buffer_gl1_inv
	buffer_gl0_inv
	v_cmpx_eq_u32_e32 0, v17
	s_cbranch_execz .LBB4_606
; %bb.605:                              ;   in Loop: Header=BB4_221 Depth=2
	s_bcnt1_i32_b32 s25, s25
	v_mov_b32_e32 v54, s25
	ds_add_u64 v0, v[54:55]
	s_trap 2
.LBB4_606:                              ;   in Loop: Header=BB4_221 Depth=2
	s_or_b32 exec_lo, exec_lo, s24
	s_trap 2
	ds_read_b64 v[19:20], v0
	s_waitcnt lgkmcnt(0)
	buffer_gl0_inv
	v_add_co_u32 v2, vcc_lo, v2, v102
	v_add_co_ci_u32_e64 v3, null, 0, v3, vcc_lo
	s_mov_b32 s24, exec_lo
	v_cmpx_lt_u64_e64 v[19:20], v[2:3]
	s_cbranch_execz .LBB4_615
; %bb.607:                              ;   in Loop: Header=BB4_221 Depth=2
	s_mov_b32 s25, 0
	s_mov_b32 s28, 0
                                        ; implicit-def: $sgpr26
                                        ; implicit-def: $sgpr27
	s_inst_prefetch 0x1
	s_branch .LBB4_609
	.p2align	6
.LBB4_608:                              ;   in Loop: Header=BB4_609 Depth=3
	s_or_b32 exec_lo, exec_lo, s40
	s_and_b32 s29, exec_lo, s41
	s_or_b32 s25, s29, s25
	s_andn2_b32 s26, s26, exec_lo
	s_and_b32 s29, s27, exec_lo
	s_or_b32 s26, s26, s29
	s_andn2_b32 exec_lo, exec_lo, s25
	s_cbranch_execz .LBB4_613
.LBB4_609:                              ;   Parent Loop BB4_44 Depth=1
                                        ;     Parent Loop BB4_221 Depth=2
                                        ; =>    This Inner Loop Header: Depth=3
	s_add_i32 s28, s28, 1
	s_cmpk_lg_i32 s28, 0x2710
	s_cselect_b32 s29, -1, 0
	s_and_b32 vcc_lo, exec_lo, s29
	s_cbranch_vccz .LBB4_611
; %bb.610:                              ;   in Loop: Header=BB4_609 Depth=3
	s_mov_b32 s41, -1
	s_or_b32 s27, s27, exec_lo
	s_and_saveexec_b32 s40, s29
	s_cbranch_execz .LBB4_608
	s_branch .LBB4_612
	.p2align	6
.LBB4_611:                              ;   in Loop: Header=BB4_609 Depth=3
	s_trap 2
	ds_read_b64 v[19:20], v0
	s_andn2_b32 s29, s29, exec_lo
	s_mov_b32 s28, 0
	s_waitcnt lgkmcnt(0)
	flat_load_dword v17, v[19:20] glc dlc
	s_waitcnt vmcnt(0) lgkmcnt(0)
	buffer_gl1_inv
	buffer_gl0_inv
	v_cmp_eq_u32_e32 vcc_lo, 0, v17
	s_and_b32 s40, vcc_lo, exec_lo
	s_or_b32 s29, s29, s40
	s_mov_b32 s41, -1
	s_or_b32 s27, s27, exec_lo
	s_and_saveexec_b32 s40, s29
	s_cbranch_execz .LBB4_608
.LBB4_612:                              ;   in Loop: Header=BB4_609 Depth=3
	s_sleep 1
	s_trap 2
	ds_read_b64 v[19:20], v0
	s_waitcnt lgkmcnt(0)
	buffer_gl0_inv
	s_andn2_b32 s27, s27, exec_lo
	v_cmp_ge_u64_e32 vcc_lo, v[19:20], v[2:3]
	s_orn2_b32 s41, vcc_lo, exec_lo
	s_branch .LBB4_608
.LBB4_613:                              ;   in Loop: Header=BB4_221 Depth=2
	s_inst_prefetch 0x2
	s_or_b32 exec_lo, exec_lo, s25
	s_and_saveexec_b32 s25, s26
	s_xor_b32 s25, exec_lo, s25
	s_cbranch_execz .LBB4_615
; %bb.614:                              ;   in Loop: Header=BB4_221 Depth=2
	ds_write_b32 v0, v119
	s_trap 2
.LBB4_615:                              ;   in Loop: Header=BB4_221 Depth=2
	s_or_b32 exec_lo, exec_lo, s24
	;;#ASMSTART
	s_wakeup
	;;#ASMEND
.LBB4_616:                              ;   in Loop: Header=BB4_221 Depth=2
	s_or_b32 exec_lo, exec_lo, s23
.LBB4_617:                              ;   in Loop: Header=BB4_221 Depth=2
	s_andn2_saveexec_b32 s12, s12
	s_cbranch_execz .LBB4_619
; %bb.618:                              ;   in Loop: Header=BB4_221 Depth=2
	s_waitcnt vmcnt(0) lgkmcnt(0)
	s_waitcnt_vscnt null, 0x0
	buffer_gl1_inv
	buffer_gl0_inv
	s_barrier
.LBB4_619:                              ;   in Loop: Header=BB4_221 Depth=2
	s_or_b32 exec_lo, exec_lo, s12
	s_or_b32 exec_lo, exec_lo, s11
	s_and_saveexec_b32 s11, s9
	s_cbranch_execnz .LBB4_259
	s_branch .LBB4_260
.LBB4_620:                              ;   in Loop: Header=BB4_44 Depth=1
	v_mov_b32_e32 v21, v70
	v_mov_b32_e32 v22, v71
	s_and_saveexec_b32 s11, s10
	s_cbranch_execnz .LBB4_623
; %bb.621:                              ;   in Loop: Header=BB4_44 Depth=1
	s_or_b32 exec_lo, exec_lo, s11
	s_and_saveexec_b32 s10, s7
	s_cbranch_execnz .LBB4_980
.LBB4_622:                              ;   in Loop: Header=BB4_44 Depth=1
	s_or_b32 exec_lo, exec_lo, s10
	s_and_saveexec_b32 s10, s9
	s_cbranch_execz .LBB4_43
	s_branch .LBB4_998
.LBB4_623:                              ;   in Loop: Header=BB4_44 Depth=1
	flat_load_dword v54, v[23:24]
	v_and_b32_e32 v17, 7, v34
	s_waitcnt vmcnt(1) lgkmcnt(1)
	v_add_co_u32 v19, vcc_lo, v11, v56
	v_add_co_ci_u32_e64 v20, null, v12, v57, vcc_lo
	v_mul_lo_u32 v17, v17, s18
	v_add_nc_u32_e32 v83, 1, v34
	s_mov_b32 s12, 0
	v_ashrrev_i32_e32 v18, 31, v17
	v_lshlrev_b64 v[17:18], 4, v[17:18]
	s_waitcnt vmcnt(0) lgkmcnt(0)
	v_ashrrev_i32_e32 v70, 31, v54
	v_mul_lo_u32 v80, v100, v54
	v_mad_u64_u32 v[19:20], null, v99, v54, v[19:20]
	v_mul_lo_u32 v54, v99, v70
	v_add_co_u32 v70, vcc_lo, v114, v56
	v_add_co_ci_u32_e64 v71, null, v115, v57, vcc_lo
	v_add_co_u32 v84, vcc_lo, v32, v17
	v_add_co_ci_u32_e64 v85, null, v33, v18, vcc_lo
	v_add3_u32 v20, v80, v20, v54
	v_add_co_u32 v86, vcc_lo, v19, v101
	v_mov_b32_e32 v80, v4
	v_add_co_ci_u32_e64 v87, null, 0, v20, vcc_lo
	s_branch .LBB4_625
.LBB4_624:                              ;   in Loop: Header=BB4_625 Depth=2
	v_sub_nc_u32_e32 v46, v46, v103
	v_add_co_u32 v86, vcc_lo, v86, v103
	v_add_co_ci_u32_e64 v87, null, 0, v87, vcc_lo
	v_cmp_gt_i32_e32 vcc_lo, 1, v46
	v_add_co_u32 v70, s10, v70, v103
	v_add_co_ci_u32_e64 v71, null, 0, v71, s10
	v_add_nc_u32_e32 v80, v80, v1
	s_or_b32 s12, vcc_lo, s12
	s_andn2_b32 exec_lo, exec_lo, s12
	s_cbranch_execz .LBB4_979
.LBB4_625:                              ;   Parent Loop BB4_44 Depth=1
                                        ; =>  This Loop Header: Depth=2
                                        ;       Child Loop BB4_633 Depth 3
	v_and_b32_e32 v17, -4, v86
	v_mov_b32_e32 v18, v87
	v_min_u32_e32 v19, 8, v46
	v_and_b32_e32 v20, 3, v86
	v_mov_b32_e32 v97, 0
	v_mov_b32_e32 v56, 0
	global_load_dword v96, v[17:18], off slc
	s_mov_b32 s10, exec_lo
	v_add_nc_u32_e32 v54, v20, v19
	v_cmpx_lt_u32_e32 4, v54
	s_cbranch_execz .LBB4_627
; %bb.626:                              ;   in Loop: Header=BB4_625 Depth=2
	global_load_dword v56, v[17:18], off offset:4 slc
.LBB4_627:                              ;   in Loop: Header=BB4_625 Depth=2
	s_or_b32 exec_lo, exec_lo, s10
	s_mov_b32 s10, exec_lo
	v_cmpx_lt_u64_e32 8, v[54:55]
	s_cbranch_execz .LBB4_629
; %bb.628:                              ;   in Loop: Header=BB4_625 Depth=2
	global_load_dword v97, v[17:18], off offset:8 slc
.LBB4_629:                              ;   in Loop: Header=BB4_625 Depth=2
	s_or_b32 exec_lo, exec_lo, s10
	v_mov_b32_e32 v81, v55
	v_lshlrev_b64 v[17:18], 4, v[80:81]
	v_add_co_u32 v81, vcc_lo, v84, v17
	v_add_co_ci_u32_e64 v82, null, v85, v18, vcc_lo
	v_cmp_eq_u32_e32 vcc_lo, 0, v45
	v_mov_b32_e32 v45, 1
	global_load_dwordx4 v[17:20], v[81:82], off slc
	s_and_saveexec_b32 s22, vcc_lo
	s_cbranch_execz .LBB4_641
; %bb.630:                              ;   in Loop: Header=BB4_625 Depth=2
	s_waitcnt vmcnt(0)
	v_cmp_ne_u32_e32 vcc_lo, v83, v18
	v_cmp_ne_u32_e64 s10, v83, v20
	v_mov_b32_e32 v45, 0
	s_or_b32 s10, vcc_lo, s10
	s_and_saveexec_b32 s23, s10
	s_cbranch_execz .LBB4_640
; %bb.631:                              ;   in Loop: Header=BB4_625 Depth=2
	s_mov_b32 s27, 1
	s_mov_b32 s25, 0
                                        ; implicit-def: $sgpr24
                                        ; implicit-def: $sgpr26
	s_inst_prefetch 0x1
	s_branch .LBB4_633
	.p2align	6
.LBB4_632:                              ;   in Loop: Header=BB4_633 Depth=3
	s_or_b32 exec_lo, exec_lo, s29
	s_and_b32 s10, exec_lo, s10
	s_or_b32 s25, s10, s25
	s_andn2_b32 s10, s24, exec_lo
	s_and_b32 s24, s26, exec_lo
	s_or_b32 s24, s10, s24
	s_andn2_b32 exec_lo, exec_lo, s25
	s_cbranch_execz .LBB4_637
.LBB4_633:                              ;   Parent Loop BB4_44 Depth=1
                                        ;     Parent Loop BB4_625 Depth=2
                                        ; =>    This Inner Loop Header: Depth=3
	global_load_dwordx4 v[17:20], v[81:82], off slc
	s_add_i32 s27, s27, 1
	s_mov_b32 s10, -1
	s_cmpk_lg_i32 s27, 0x2710
	s_mov_b32 s28, -1
                                        ; implicit-def: $vgpr54
	s_cbranch_scc0 .LBB4_635
; %bb.634:                              ;   in Loop: Header=BB4_633 Depth=3
	s_or_b32 s26, s26, exec_lo
	s_and_saveexec_b32 s29, s28
	s_cbranch_execz .LBB4_632
	s_branch .LBB4_636
	.p2align	6
.LBB4_635:                              ;   in Loop: Header=BB4_633 Depth=3
	s_trap 2
	ds_read_b64 v[57:58], v0
	s_mov_b32 s27, 0
	s_waitcnt vmcnt(0) lgkmcnt(0)
	s_waitcnt_vscnt null, 0x0
	flat_load_dword v54, v[57:58] glc dlc
	s_waitcnt vmcnt(0) lgkmcnt(0)
	buffer_gl1_inv
	buffer_gl0_inv
	v_cmp_eq_u32_e32 vcc_lo, 0, v54
	s_orn2_b32 s28, vcc_lo, exec_lo
	s_or_b32 s26, s26, exec_lo
	s_and_saveexec_b32 s29, s28
	s_cbranch_execz .LBB4_632
.LBB4_636:                              ;   in Loop: Header=BB4_633 Depth=3
	s_waitcnt vmcnt(0)
	v_cmp_eq_u32_e32 vcc_lo, v83, v18
	v_cmp_eq_u32_e64 s10, v83, v20
	s_andn2_b32 s26, s26, exec_lo
	s_and_b32 s10, vcc_lo, s10
	s_orn2_b32 s10, s10, exec_lo
	s_branch .LBB4_632
.LBB4_637:                              ;   in Loop: Header=BB4_625 Depth=2
	s_inst_prefetch 0x2
	s_or_b32 exec_lo, exec_lo, s25
	v_mov_b32_e32 v45, 0
	s_and_saveexec_b32 s10, s24
	s_xor_b32 s10, exec_lo, s10
	s_cbranch_execz .LBB4_639
; %bb.638:                              ;   in Loop: Header=BB4_625 Depth=2
	v_mov_b32_e32 v45, 1
	s_waitcnt vmcnt(0)
	s_waitcnt_vscnt null, 0x0
	ds_write_b32 v0, v54
	s_trap 2
.LBB4_639:                              ;   in Loop: Header=BB4_625 Depth=2
	s_or_b32 exec_lo, exec_lo, s10
.LBB4_640:                              ;   in Loop: Header=BB4_625 Depth=2
	s_or_b32 exec_lo, exec_lo, s23
.LBB4_641:                              ;   in Loop: Header=BB4_625 Depth=2
	s_or_b32 exec_lo, exec_lo, s22
	s_waitcnt vmcnt(0)
	v_lshlrev_b32_e32 v18, 3, v86
	s_mov_b32 s10, 0
	v_alignbit_b32 v54, v56, v96, v18
	v_cmp_gt_i16_sdwa s22, v54, v40 src0_sel:BYTE_0 src1_sel:DWORD
	s_and_saveexec_b32 s23, s22
	s_xor_b32 s22, exec_lo, s23
	s_cbranch_execnz .LBB4_883
; %bb.642:                              ;   in Loop: Header=BB4_625 Depth=2
	s_or_saveexec_b32 s22, s22
	v_mov_b32_e32 v20, 0x7f800001
	s_xor_b32 exec_lo, exec_lo, s22
	s_cbranch_execnz .LBB4_886
.LBB4_643:                              ;   in Loop: Header=BB4_625 Depth=2
	s_or_b32 exec_lo, exec_lo, s22
	s_and_saveexec_b32 s22, s10
	s_cbranch_execz .LBB4_645
.LBB4_644:                              ;   in Loop: Header=BB4_625 Depth=2
	v_and_b32_e32 v20, 7, v54
	v_bfe_u32 v96, v54, 3, 4
	v_lshlrev_b32_e32 v47, 24, v54
	v_ffbh_u32_e32 v81, v20
	v_cmp_eq_u32_e32 vcc_lo, 0, v96
	v_min_u32_e32 v81, 32, v81
	v_subrev_nc_u32_e32 v82, 28, v81
	v_sub_nc_u32_e32 v81, 29, v81
	v_lshlrev_b32_e32 v82, v82, v54
	v_cndmask_b32_e32 v81, v96, v81, vcc_lo
	v_and_b32_e32 v82, 7, v82
	v_lshl_add_u32 v81, v81, 23, 0x3b800000
	v_cndmask_b32_e32 v20, v20, v82, vcc_lo
	v_and_b32_e32 v82, 0x80000000, v47
	v_lshlrev_b32_e32 v20, 20, v20
	v_or3_b32 v20, v82, v81, v20
.LBB4_645:                              ;   in Loop: Header=BB4_625 Depth=2
	s_or_b32 exec_lo, exec_lo, s22
	v_mul_f32_e32 v81, v0, v20
	v_and_b32_e32 v20, 0x7f800000, v81
	v_cmp_ne_u32_e32 vcc_lo, 0x7f800000, v20
	v_mov_b32_e32 v20, 0x80
	s_and_saveexec_b32 s22, vcc_lo
	s_cbranch_execz .LBB4_653
; %bb.646:                              ;   in Loop: Header=BB4_625 Depth=2
	v_mov_b32_e32 v20, 0
	s_mov_b32 s23, exec_lo
	v_cmpx_ne_u32_e32 0, v81
	s_cbranch_execz .LBB4_652
; %bb.647:                              ;   in Loop: Header=BB4_625 Depth=2
	v_bfe_u32 v20, v81, 23, 8
	v_and_b32_e32 v82, 0x7fffff, v81
	v_sub_nc_u32_e32 v96, 0x78, v20
	v_cmp_gt_u32_e32 vcc_lo, 0x79, v20
	v_or_b32_e32 v47, 0x800000, v82
	v_cndmask_b32_e32 v96, 0, v96, vcc_lo
	v_cmp_eq_u32_e32 vcc_lo, 0, v20
	v_add_nc_u32_e32 v20, 0xffffff89, v20
	v_cndmask_b32_e64 v96, v96, 0x77, vcc_lo
	v_cndmask_b32_e32 v82, v47, v82, vcc_lo
	v_cndmask_b32_e64 v20, v20, 0xffffff8a, vcc_lo
	v_lshl_add_u32 v47, 0x100000, v96, -1
	v_lshrrev_b32_e32 v57, v96, v82
	v_lshlrev_b32_e64 v59, v96, 0x80000
	v_add_nc_u32_e32 v96, v96, v20
	v_and_b32_e32 v82, v47, v82
	v_bfe_u32 v58, v57, 20, 1
	v_cmp_eq_u32_e64 s10, v82, v59
	v_add_nc_u32_e32 v47, -1, v58
	v_cndmask_b32_e64 v82, 0, v47, s10
	v_lshrrev_b32_e32 v47, 23, v57
	s_mov_b32 s10, exec_lo
	v_add_nc_u32_e32 v82, v82, v57
	v_xor_b32_e32 v47, 1, v47
	v_and_b32_e32 v20, 0xfffff, v82
	v_add_nc_u32_e32 v82, v20, v57
                                        ; implicit-def: $vgpr20
	v_cmpx_ne_u32_e64 v96, v47
	s_xor_b32 s10, exec_lo, s10
; %bb.648:                              ;   in Loop: Header=BB4_625 Depth=2
	v_cmp_lt_u32_e32 vcc_lo, 0xffffff, v82
	v_sub_nc_u32_e32 v20, v96, v47
	v_cndmask_b32_e64 v96, 0, 1, vcc_lo
	v_add_co_ci_u32_e64 v20, null, 0, v20, vcc_lo
	v_lshrrev_b32_e32 v82, v96, v82
; %bb.649:                              ;   in Loop: Header=BB4_625 Depth=2
	s_andn2_saveexec_b32 s10, s10
; %bb.650:                              ;   in Loop: Header=BB4_625 Depth=2
	v_bfe_u32 v20, v82, 23, 1
; %bb.651:                              ;   in Loop: Header=BB4_625 Depth=2
	s_or_b32 exec_lo, exec_lo, s10
	v_lshrrev_b32_e32 v82, 20, v82
	v_min_i32_e32 v96, 15, v20
	v_cmp_gt_i32_e32 vcc_lo, 16, v20
	v_and_b32_sdwa v81, v81, v41 dst_sel:DWORD dst_unused:UNUSED_PAD src0_sel:BYTE_3 src1_sel:DWORD
	v_lshlrev_b32_e32 v96, 3, v96
	v_cndmask_b32_e32 v82, 7, v82, vcc_lo
	v_and_b32_e32 v96, 0xf8, v96
	v_and_b32_e32 v47, 7, v82
	v_or_b32_e32 v20, v20, v82
	v_or3_b32 v81, v96, v81, v47
	v_cmp_ne_u32_e32 vcc_lo, 0, v20
	v_cndmask_b32_e32 v20, 0, v81, vcc_lo
.LBB4_652:                              ;   in Loop: Header=BB4_625 Depth=2
	s_or_b32 exec_lo, exec_lo, s23
.LBB4_653:                              ;   in Loop: Header=BB4_625 Depth=2
	s_or_b32 exec_lo, exec_lo, s22
	v_cmp_gt_i16_sdwa s22, v54, v40 src0_sel:BYTE_1 src1_sel:DWORD
	s_mov_b32 s10, 0
	s_and_saveexec_b32 s23, s22
	s_xor_b32 s22, exec_lo, s23
	s_cbranch_execnz .LBB4_887
; %bb.654:                              ;   in Loop: Header=BB4_625 Depth=2
	s_or_saveexec_b32 s22, s22
	v_mov_b32_e32 v81, 0x7f800001
	s_xor_b32 exec_lo, exec_lo, s22
	s_cbranch_execnz .LBB4_890
.LBB4_655:                              ;   in Loop: Header=BB4_625 Depth=2
	s_or_b32 exec_lo, exec_lo, s22
	s_and_saveexec_b32 s22, s10
	s_cbranch_execz .LBB4_657
.LBB4_656:                              ;   in Loop: Header=BB4_625 Depth=2
	v_and_b32_sdwa v81, v42, v54 dst_sel:DWORD dst_unused:UNUSED_PAD src0_sel:DWORD src1_sel:BYTE_1
	v_and_b32_e32 v82, 7, v81
	v_bfe_u32 v57, v81, 3, 4
	v_ffbh_u32_e32 v96, v82
	v_cmp_eq_u32_e32 vcc_lo, 0, v57
	v_min_u32_e32 v96, 32, v96
	v_subrev_nc_u32_e32 v47, 28, v96
	v_sub_nc_u32_e32 v96, 29, v96
	v_lshlrev_b32_e32 v81, v47, v81
	v_lshlrev_b32_sdwa v47, v43, v54 dst_sel:DWORD dst_unused:UNUSED_PAD src0_sel:DWORD src1_sel:BYTE_1
	v_cndmask_b32_e32 v96, v57, v96, vcc_lo
	v_and_b32_e32 v81, 7, v81
	v_lshl_add_u32 v96, v96, 23, 0x3b800000
	v_cndmask_b32_e32 v81, v82, v81, vcc_lo
	v_and_b32_e32 v82, 0x80000000, v47
	v_lshlrev_b32_e32 v81, 20, v81
	v_or3_b32 v81, v82, v96, v81
.LBB4_657:                              ;   in Loop: Header=BB4_625 Depth=2
	s_or_b32 exec_lo, exec_lo, s22
	v_mul_f32_e32 v81, v0, v81
	v_and_b32_e32 v82, 0x7f800000, v81
	v_cmp_ne_u32_e32 vcc_lo, 0x7f800000, v82
	v_mov_b32_e32 v82, 0x8000
	s_and_saveexec_b32 s22, vcc_lo
	s_cbranch_execz .LBB4_665
; %bb.658:                              ;   in Loop: Header=BB4_625 Depth=2
	v_mov_b32_e32 v82, 0
	s_mov_b32 s23, exec_lo
	v_cmpx_ne_u32_e32 0, v81
	s_cbranch_execz .LBB4_664
; %bb.659:                              ;   in Loop: Header=BB4_625 Depth=2
	v_bfe_u32 v82, v81, 23, 8
	v_and_b32_e32 v96, 0x7fffff, v81
	v_sub_nc_u32_e32 v47, 0x78, v82
	v_cmp_gt_u32_e32 vcc_lo, 0x79, v82
	v_or_b32_e32 v57, 0x800000, v96
	v_cndmask_b32_e32 v47, 0, v47, vcc_lo
	v_cmp_eq_u32_e32 vcc_lo, 0, v82
	v_add_nc_u32_e32 v82, 0xffffff89, v82
	v_cndmask_b32_e64 v47, v47, 0x77, vcc_lo
	v_cndmask_b32_e32 v96, v57, v96, vcc_lo
	v_cndmask_b32_e64 v82, v82, 0xffffff8a, vcc_lo
	v_lshl_add_u32 v57, 0x100000, v47, -1
	v_lshrrev_b32_e32 v58, v47, v96
	v_lshlrev_b32_e64 v60, v47, 0x80000
	v_add_nc_u32_e32 v47, v47, v82
	v_and_b32_e32 v96, v57, v96
	v_bfe_u32 v59, v58, 20, 1
	v_cmp_eq_u32_e64 s10, v96, v60
	v_add_nc_u32_e32 v57, -1, v59
	v_cndmask_b32_e64 v96, 0, v57, s10
	v_lshrrev_b32_e32 v57, 23, v58
	s_mov_b32 s10, exec_lo
	v_add_nc_u32_e32 v96, v96, v58
	v_xor_b32_e32 v57, 1, v57
	v_and_b32_e32 v82, 0xfffff, v96
	v_add_nc_u32_e32 v96, v82, v58
                                        ; implicit-def: $vgpr82
	v_cmpx_ne_u32_e64 v47, v57
	s_xor_b32 s10, exec_lo, s10
; %bb.660:                              ;   in Loop: Header=BB4_625 Depth=2
	v_cmp_lt_u32_e32 vcc_lo, 0xffffff, v96
	v_sub_nc_u32_e32 v82, v47, v57
	v_cndmask_b32_e64 v47, 0, 1, vcc_lo
	v_add_co_ci_u32_e64 v82, null, 0, v82, vcc_lo
	v_lshrrev_b32_e32 v96, v47, v96
; %bb.661:                              ;   in Loop: Header=BB4_625 Depth=2
	s_andn2_saveexec_b32 s10, s10
; %bb.662:                              ;   in Loop: Header=BB4_625 Depth=2
	v_bfe_u32 v82, v96, 23, 1
; %bb.663:                              ;   in Loop: Header=BB4_625 Depth=2
	s_or_b32 exec_lo, exec_lo, s10
	v_lshrrev_b32_e32 v96, 20, v96
	v_min_i32_e32 v47, 15, v82
	v_cmp_gt_i32_e32 vcc_lo, 16, v82
	v_and_b32_sdwa v81, v81, v41 dst_sel:DWORD dst_unused:UNUSED_PAD src0_sel:BYTE_3 src1_sel:DWORD
	v_lshlrev_b32_e32 v47, 3, v47
	v_cndmask_b32_e32 v96, 7, v96, vcc_lo
	v_and_b32_e32 v47, 0xf8, v47
	v_and_b32_e32 v57, 7, v96
	v_or_b32_e32 v82, v82, v96
	v_or3_b32 v81, v81, v47, v57
	v_cmp_ne_u32_e32 vcc_lo, 0, v82
	v_lshlrev_b32_e32 v81, 8, v81
	v_cndmask_b32_e32 v82, 0, v81, vcc_lo
.LBB4_664:                              ;   in Loop: Header=BB4_625 Depth=2
	s_or_b32 exec_lo, exec_lo, s23
.LBB4_665:                              ;   in Loop: Header=BB4_625 Depth=2
	s_or_b32 exec_lo, exec_lo, s22
	v_and_b32_sdwa v96, v54, v44 dst_sel:DWORD dst_unused:UNUSED_PAD src0_sel:WORD_1 src1_sel:DWORD
	s_mov_b32 s10, 0
	s_mov_b32 s22, exec_lo
	v_cmpx_lt_i16_e32 0x7f, v96
	s_xor_b32 s22, exec_lo, s22
	s_cbranch_execnz .LBB4_891
; %bb.666:                              ;   in Loop: Header=BB4_625 Depth=2
	s_or_saveexec_b32 s22, s22
	v_mov_b32_e32 v81, 0x7f800001
	s_xor_b32 exec_lo, exec_lo, s22
	s_cbranch_execnz .LBB4_894
.LBB4_667:                              ;   in Loop: Header=BB4_625 Depth=2
	s_or_b32 exec_lo, exec_lo, s22
	s_and_saveexec_b32 s22, s10
	s_cbranch_execz .LBB4_669
.LBB4_668:                              ;   in Loop: Header=BB4_625 Depth=2
	v_bfe_u32 v81, v54, 16, 3
	v_bfe_u32 v57, v54, 19, 4
	v_lshlrev_b32_e32 v58, 8, v54
	v_ffbh_u32_e32 v96, v81
	v_cmp_eq_u32_e32 vcc_lo, 0, v57
	v_min_u32_e32 v96, 32, v96
	v_subrev_nc_u32_e32 v47, 28, v96
	v_sub_nc_u32_e32 v96, 29, v96
	v_lshlrev_b32_sdwa v47, v47, v54 dst_sel:DWORD dst_unused:UNUSED_PAD src0_sel:DWORD src1_sel:WORD_1
	v_cndmask_b32_e32 v96, v57, v96, vcc_lo
	v_and_b32_e32 v47, 7, v47
	v_lshl_add_u32 v96, v96, 23, 0x3b800000
	v_cndmask_b32_e32 v81, v81, v47, vcc_lo
	v_and_b32_e32 v47, 0x80000000, v58
	v_lshlrev_b32_e32 v81, 20, v81
	v_or3_b32 v81, v47, v96, v81
.LBB4_669:                              ;   in Loop: Header=BB4_625 Depth=2
	s_or_b32 exec_lo, exec_lo, s22
	v_mul_f32_e32 v81, v0, v81
	v_and_b32_e32 v96, 0x7f800000, v81
	v_cmp_ne_u32_e32 vcc_lo, 0x7f800000, v96
	v_mov_b32_e32 v96, 0x80
	s_and_saveexec_b32 s22, vcc_lo
	s_cbranch_execz .LBB4_677
; %bb.670:                              ;   in Loop: Header=BB4_625 Depth=2
	v_mov_b32_e32 v96, 0
	s_mov_b32 s23, exec_lo
	v_cmpx_ne_u32_e32 0, v81
	s_cbranch_execz .LBB4_676
; %bb.671:                              ;   in Loop: Header=BB4_625 Depth=2
	v_bfe_u32 v96, v81, 23, 8
	v_and_b32_e32 v47, 0x7fffff, v81
	v_sub_nc_u32_e32 v57, 0x78, v96
	v_cmp_gt_u32_e32 vcc_lo, 0x79, v96
	v_or_b32_e32 v58, 0x800000, v47
	v_cndmask_b32_e32 v57, 0, v57, vcc_lo
	v_cmp_eq_u32_e32 vcc_lo, 0, v96
	v_add_nc_u32_e32 v96, 0xffffff89, v96
	v_cndmask_b32_e64 v57, v57, 0x77, vcc_lo
	v_cndmask_b32_e32 v47, v58, v47, vcc_lo
	v_cndmask_b32_e64 v96, v96, 0xffffff8a, vcc_lo
	v_lshl_add_u32 v58, 0x100000, v57, -1
	v_lshrrev_b32_e32 v59, v57, v47
	v_lshlrev_b32_e64 v61, v57, 0x80000
	v_add_nc_u32_e32 v57, v57, v96
	v_and_b32_e32 v47, v58, v47
	v_bfe_u32 v60, v59, 20, 1
	v_cmp_eq_u32_e64 s10, v47, v61
	v_add_nc_u32_e32 v58, -1, v60
	v_cndmask_b32_e64 v47, 0, v58, s10
	v_lshrrev_b32_e32 v58, 23, v59
	s_mov_b32 s10, exec_lo
	v_add_nc_u32_e32 v47, v47, v59
	v_xor_b32_e32 v58, 1, v58
	v_and_b32_e32 v96, 0xfffff, v47
	v_add_nc_u32_e32 v47, v96, v59
                                        ; implicit-def: $vgpr96
	v_cmpx_ne_u32_e64 v57, v58
	s_xor_b32 s10, exec_lo, s10
; %bb.672:                              ;   in Loop: Header=BB4_625 Depth=2
	v_cmp_lt_u32_e32 vcc_lo, 0xffffff, v47
	v_sub_nc_u32_e32 v96, v57, v58
	v_cndmask_b32_e64 v57, 0, 1, vcc_lo
	v_add_co_ci_u32_e64 v96, null, 0, v96, vcc_lo
	v_lshrrev_b32_e32 v47, v57, v47
; %bb.673:                              ;   in Loop: Header=BB4_625 Depth=2
	s_andn2_saveexec_b32 s10, s10
; %bb.674:                              ;   in Loop: Header=BB4_625 Depth=2
	v_bfe_u32 v96, v47, 23, 1
; %bb.675:                              ;   in Loop: Header=BB4_625 Depth=2
	s_or_b32 exec_lo, exec_lo, s10
	v_lshrrev_b32_e32 v47, 20, v47
	v_min_i32_e32 v57, 15, v96
	v_cmp_gt_i32_e32 vcc_lo, 16, v96
	v_and_b32_sdwa v81, v81, v41 dst_sel:DWORD dst_unused:UNUSED_PAD src0_sel:BYTE_3 src1_sel:DWORD
	v_lshlrev_b32_e32 v57, 3, v57
	v_cndmask_b32_e32 v47, 7, v47, vcc_lo
	v_and_b32_e32 v57, 0xf8, v57
	v_and_b32_e32 v58, 7, v47
	v_or_b32_e32 v96, v96, v47
	v_or3_b32 v81, v57, v81, v58
	v_cmp_ne_u32_e32 vcc_lo, 0, v96
	v_cndmask_b32_e32 v96, 0, v81, vcc_lo
.LBB4_676:                              ;   in Loop: Header=BB4_625 Depth=2
	s_or_b32 exec_lo, exec_lo, s23
.LBB4_677:                              ;   in Loop: Header=BB4_625 Depth=2
	s_or_b32 exec_lo, exec_lo, s22
	v_cmp_gt_i16_sdwa s22, v54, v40 src0_sel:BYTE_3 src1_sel:DWORD
	s_mov_b32 s10, 0
	s_and_saveexec_b32 s23, s22
	s_xor_b32 s22, exec_lo, s23
	s_cbranch_execnz .LBB4_895
; %bb.678:                              ;   in Loop: Header=BB4_625 Depth=2
	s_or_saveexec_b32 s22, s22
	v_mov_b32_e32 v81, 0x7f800001
	s_xor_b32 exec_lo, exec_lo, s22
	s_cbranch_execnz .LBB4_898
.LBB4_679:                              ;   in Loop: Header=BB4_625 Depth=2
	s_or_b32 exec_lo, exec_lo, s22
	s_and_saveexec_b32 s22, s10
	s_cbranch_execz .LBB4_681
.LBB4_680:                              ;   in Loop: Header=BB4_625 Depth=2
	v_bfe_u32 v81, v54, 24, 3
	v_bfe_u32 v58, v54, 27, 4
	v_ffbh_u32_e32 v47, v81
	v_cmp_eq_u32_e32 vcc_lo, 0, v58
	v_min_u32_e32 v47, 32, v47
	v_subrev_nc_u32_e32 v57, 28, v47
	v_sub_nc_u32_e32 v47, 29, v47
	v_lshlrev_b32_sdwa v57, v57, v54 dst_sel:DWORD dst_unused:UNUSED_PAD src0_sel:DWORD src1_sel:BYTE_3
	v_cndmask_b32_e32 v47, v58, v47, vcc_lo
	v_and_b32_e32 v54, 0x80000000, v54
	v_and_b32_e32 v57, 7, v57
	v_lshl_add_u32 v47, v47, 23, 0x3b800000
	v_cndmask_b32_e32 v81, v81, v57, vcc_lo
	v_lshlrev_b32_e32 v81, 20, v81
	v_or3_b32 v81, v54, v47, v81
.LBB4_681:                              ;   in Loop: Header=BB4_625 Depth=2
	s_or_b32 exec_lo, exec_lo, s22
	v_mul_f32_e32 v54, v0, v81
	v_mov_b32_e32 v47, 0x8000
	s_mov_b32 s22, exec_lo
	v_and_b32_e32 v81, 0x7f800000, v54
	v_cmpx_ne_u32_e32 0x7f800000, v81
	s_cbranch_execz .LBB4_689
; %bb.682:                              ;   in Loop: Header=BB4_625 Depth=2
	v_mov_b32_e32 v47, 0
	s_mov_b32 s23, exec_lo
	v_cmpx_ne_u32_e32 0, v54
	s_cbranch_execz .LBB4_688
; %bb.683:                              ;   in Loop: Header=BB4_625 Depth=2
	v_bfe_u32 v81, v54, 23, 8
	v_and_b32_e32 v47, 0x7fffff, v54
	v_sub_nc_u32_e32 v57, 0x78, v81
	v_cmp_gt_u32_e32 vcc_lo, 0x79, v81
	v_or_b32_e32 v58, 0x800000, v47
	v_cndmask_b32_e32 v57, 0, v57, vcc_lo
	v_cmp_eq_u32_e32 vcc_lo, 0, v81
	v_add_nc_u32_e32 v81, 0xffffff89, v81
	v_cndmask_b32_e64 v57, v57, 0x77, vcc_lo
	v_cndmask_b32_e32 v47, v58, v47, vcc_lo
	v_cndmask_b32_e64 v81, v81, 0xffffff8a, vcc_lo
	v_lshl_add_u32 v58, 0x100000, v57, -1
	v_lshrrev_b32_e32 v59, v57, v47
	v_lshlrev_b32_e64 v61, v57, 0x80000
	v_add_nc_u32_e32 v57, v57, v81
	v_and_b32_e32 v47, v58, v47
	v_bfe_u32 v60, v59, 20, 1
	v_cmp_eq_u32_e64 s10, v47, v61
	v_add_nc_u32_e32 v58, -1, v60
	v_cndmask_b32_e64 v47, 0, v58, s10
	v_lshrrev_b32_e32 v58, 23, v59
	s_mov_b32 s10, exec_lo
	v_add_nc_u32_e32 v47, v47, v59
	v_xor_b32_e32 v58, 1, v58
	v_and_b32_e32 v81, 0xfffff, v47
	v_add_nc_u32_e32 v47, v81, v59
                                        ; implicit-def: $vgpr81
	v_cmpx_ne_u32_e64 v57, v58
	s_xor_b32 s10, exec_lo, s10
; %bb.684:                              ;   in Loop: Header=BB4_625 Depth=2
	v_cmp_lt_u32_e32 vcc_lo, 0xffffff, v47
	v_sub_nc_u32_e32 v81, v57, v58
	v_cndmask_b32_e64 v57, 0, 1, vcc_lo
	v_add_co_ci_u32_e64 v81, null, 0, v81, vcc_lo
	v_lshrrev_b32_e32 v47, v57, v47
; %bb.685:                              ;   in Loop: Header=BB4_625 Depth=2
	s_andn2_saveexec_b32 s10, s10
; %bb.686:                              ;   in Loop: Header=BB4_625 Depth=2
	v_bfe_u32 v81, v47, 23, 1
; %bb.687:                              ;   in Loop: Header=BB4_625 Depth=2
	s_or_b32 exec_lo, exec_lo, s10
	v_lshrrev_b32_e32 v47, 20, v47
	v_min_i32_e32 v57, 15, v81
	v_cmp_gt_i32_e32 vcc_lo, 16, v81
	v_and_b32_sdwa v54, v54, v41 dst_sel:DWORD dst_unused:UNUSED_PAD src0_sel:BYTE_3 src1_sel:DWORD
	v_lshlrev_b32_e32 v57, 3, v57
	v_cndmask_b32_e32 v47, 7, v47, vcc_lo
	v_and_b32_e32 v57, 0xf8, v57
	v_and_b32_e32 v58, 7, v47
	v_or_b32_e32 v81, v81, v47
	v_or3_b32 v54, v54, v57, v58
	v_cmp_ne_u32_e32 vcc_lo, 0, v81
	v_lshlrev_b32_e32 v54, 8, v54
	v_cndmask_b32_e32 v47, 0, v54, vcc_lo
.LBB4_688:                              ;   in Loop: Header=BB4_625 Depth=2
	s_or_b32 exec_lo, exec_lo, s23
.LBB4_689:                              ;   in Loop: Header=BB4_625 Depth=2
	s_or_b32 exec_lo, exec_lo, s22
	v_alignbit_b32 v81, v97, v56, v18
	s_mov_b32 s10, 0
	v_cmp_gt_i16_sdwa s22, v81, v40 src0_sel:BYTE_0 src1_sel:DWORD
	s_and_saveexec_b32 s23, s22
	s_xor_b32 s22, exec_lo, s23
	s_cbranch_execnz .LBB4_899
; %bb.690:                              ;   in Loop: Header=BB4_625 Depth=2
	s_or_saveexec_b32 s22, s22
	v_mov_b32_e32 v18, 0x7f800001
	s_xor_b32 exec_lo, exec_lo, s22
	s_cbranch_execnz .LBB4_902
.LBB4_691:                              ;   in Loop: Header=BB4_625 Depth=2
	s_or_b32 exec_lo, exec_lo, s22
	s_and_saveexec_b32 s22, s10
	s_cbranch_execz .LBB4_693
.LBB4_692:                              ;   in Loop: Header=BB4_625 Depth=2
	v_and_b32_e32 v18, 7, v81
	v_bfe_u32 v56, v81, 3, 4
	v_lshlrev_b32_e32 v57, 24, v81
	v_ffbh_u32_e32 v54, v18
	v_cmp_eq_u32_e32 vcc_lo, 0, v56
	v_min_u32_e32 v54, 32, v54
	v_subrev_nc_u32_e32 v97, 28, v54
	v_sub_nc_u32_e32 v54, 29, v54
	v_lshlrev_b32_e32 v97, v97, v81
	v_cndmask_b32_e32 v54, v56, v54, vcc_lo
	v_and_b32_e32 v97, 7, v97
	v_lshl_add_u32 v54, v54, 23, 0x3b800000
	v_cndmask_b32_e32 v18, v18, v97, vcc_lo
	v_and_b32_e32 v97, 0x80000000, v57
	v_lshlrev_b32_e32 v18, 20, v18
	v_or3_b32 v18, v97, v54, v18
.LBB4_693:                              ;   in Loop: Header=BB4_625 Depth=2
	s_or_b32 exec_lo, exec_lo, s22
	v_mul_f32_e32 v18, v0, v18
	v_and_b32_e32 v54, 0x7f800000, v18
	v_cmp_ne_u32_e32 vcc_lo, 0x7f800000, v54
	v_mov_b32_e32 v54, 0x80
	s_and_saveexec_b32 s22, vcc_lo
	s_cbranch_execz .LBB4_701
; %bb.694:                              ;   in Loop: Header=BB4_625 Depth=2
	v_mov_b32_e32 v54, 0
	s_mov_b32 s23, exec_lo
	v_cmpx_ne_u32_e32 0, v18
	s_cbranch_execz .LBB4_700
; %bb.695:                              ;   in Loop: Header=BB4_625 Depth=2
	v_bfe_u32 v54, v18, 23, 8
	v_and_b32_e32 v97, 0x7fffff, v18
	v_sub_nc_u32_e32 v56, 0x78, v54
	v_cmp_gt_u32_e32 vcc_lo, 0x79, v54
	v_or_b32_e32 v57, 0x800000, v97
	v_cndmask_b32_e32 v56, 0, v56, vcc_lo
	v_cmp_eq_u32_e32 vcc_lo, 0, v54
	v_add_nc_u32_e32 v54, 0xffffff89, v54
	v_cndmask_b32_e64 v56, v56, 0x77, vcc_lo
	v_cndmask_b32_e32 v97, v57, v97, vcc_lo
	v_cndmask_b32_e64 v54, v54, 0xffffff8a, vcc_lo
	v_lshl_add_u32 v57, 0x100000, v56, -1
	v_lshrrev_b32_e32 v58, v56, v97
	v_lshlrev_b32_e64 v60, v56, 0x80000
	v_add_nc_u32_e32 v56, v56, v54
	v_and_b32_e32 v97, v57, v97
	v_bfe_u32 v59, v58, 20, 1
	v_cmp_eq_u32_e64 s10, v97, v60
	v_add_nc_u32_e32 v57, -1, v59
	v_cndmask_b32_e64 v97, 0, v57, s10
	v_lshrrev_b32_e32 v57, 23, v58
	s_mov_b32 s10, exec_lo
	v_add_nc_u32_e32 v97, v97, v58
	v_xor_b32_e32 v57, 1, v57
	v_and_b32_e32 v54, 0xfffff, v97
	v_add_nc_u32_e32 v97, v54, v58
                                        ; implicit-def: $vgpr54
	v_cmpx_ne_u32_e64 v56, v57
	s_xor_b32 s10, exec_lo, s10
; %bb.696:                              ;   in Loop: Header=BB4_625 Depth=2
	v_cmp_lt_u32_e32 vcc_lo, 0xffffff, v97
	v_sub_nc_u32_e32 v54, v56, v57
	v_cndmask_b32_e64 v56, 0, 1, vcc_lo
	v_add_co_ci_u32_e64 v54, null, 0, v54, vcc_lo
	v_lshrrev_b32_e32 v97, v56, v97
; %bb.697:                              ;   in Loop: Header=BB4_625 Depth=2
	s_andn2_saveexec_b32 s10, s10
; %bb.698:                              ;   in Loop: Header=BB4_625 Depth=2
	v_bfe_u32 v54, v97, 23, 1
; %bb.699:                              ;   in Loop: Header=BB4_625 Depth=2
	s_or_b32 exec_lo, exec_lo, s10
	v_lshrrev_b32_e32 v97, 20, v97
	v_min_i32_e32 v56, 15, v54
	v_cmp_gt_i32_e32 vcc_lo, 16, v54
	v_and_b32_sdwa v18, v18, v41 dst_sel:DWORD dst_unused:UNUSED_PAD src0_sel:BYTE_3 src1_sel:DWORD
	v_lshlrev_b32_e32 v56, 3, v56
	v_cndmask_b32_e32 v97, 7, v97, vcc_lo
	v_and_b32_e32 v56, 0xf8, v56
	v_and_b32_e32 v57, 7, v97
	v_or_b32_e32 v54, v54, v97
	v_or3_b32 v18, v56, v18, v57
	v_cmp_ne_u32_e32 vcc_lo, 0, v54
	v_cndmask_b32_e32 v54, 0, v18, vcc_lo
.LBB4_700:                              ;   in Loop: Header=BB4_625 Depth=2
	s_or_b32 exec_lo, exec_lo, s23
.LBB4_701:                              ;   in Loop: Header=BB4_625 Depth=2
	s_or_b32 exec_lo, exec_lo, s22
	v_cmp_gt_i16_sdwa s22, v81, v40 src0_sel:BYTE_1 src1_sel:DWORD
	s_mov_b32 s10, 0
	s_and_saveexec_b32 s23, s22
	s_xor_b32 s22, exec_lo, s23
	s_cbranch_execnz .LBB4_903
; %bb.702:                              ;   in Loop: Header=BB4_625 Depth=2
	s_or_saveexec_b32 s22, s22
	v_mov_b32_e32 v18, 0x7f800001
	s_xor_b32 exec_lo, exec_lo, s22
	s_cbranch_execnz .LBB4_906
.LBB4_703:                              ;   in Loop: Header=BB4_625 Depth=2
	s_or_b32 exec_lo, exec_lo, s22
	s_and_saveexec_b32 s22, s10
	s_cbranch_execz .LBB4_705
.LBB4_704:                              ;   in Loop: Header=BB4_625 Depth=2
	v_and_b32_sdwa v18, v42, v81 dst_sel:DWORD dst_unused:UNUSED_PAD src0_sel:DWORD src1_sel:BYTE_1
	v_and_b32_e32 v97, 7, v18
	v_bfe_u32 v58, v18, 3, 4
	v_ffbh_u32_e32 v56, v97
	v_cmp_eq_u32_e32 vcc_lo, 0, v58
	v_min_u32_e32 v56, 32, v56
	v_subrev_nc_u32_e32 v57, 28, v56
	v_sub_nc_u32_e32 v56, 29, v56
	v_lshlrev_b32_e32 v18, v57, v18
	v_lshlrev_b32_sdwa v57, v43, v81 dst_sel:DWORD dst_unused:UNUSED_PAD src0_sel:DWORD src1_sel:BYTE_1
	v_cndmask_b32_e32 v56, v58, v56, vcc_lo
	v_and_b32_e32 v18, 7, v18
	v_lshl_add_u32 v56, v56, 23, 0x3b800000
	v_cndmask_b32_e32 v18, v97, v18, vcc_lo
	v_and_b32_e32 v97, 0x80000000, v57
	v_lshlrev_b32_e32 v18, 20, v18
	v_or3_b32 v18, v97, v56, v18
.LBB4_705:                              ;   in Loop: Header=BB4_625 Depth=2
	s_or_b32 exec_lo, exec_lo, s22
	v_mul_f32_e32 v18, v0, v18
	v_and_b32_e32 v97, 0x7f800000, v18
	v_cmp_ne_u32_e32 vcc_lo, 0x7f800000, v97
	v_mov_b32_e32 v97, 0x8000
	s_and_saveexec_b32 s22, vcc_lo
	s_cbranch_execz .LBB4_713
; %bb.706:                              ;   in Loop: Header=BB4_625 Depth=2
	v_mov_b32_e32 v97, 0
	s_mov_b32 s23, exec_lo
	v_cmpx_ne_u32_e32 0, v18
	s_cbranch_execz .LBB4_712
; %bb.707:                              ;   in Loop: Header=BB4_625 Depth=2
	v_bfe_u32 v97, v18, 23, 8
	v_and_b32_e32 v56, 0x7fffff, v18
	v_sub_nc_u32_e32 v57, 0x78, v97
	v_cmp_gt_u32_e32 vcc_lo, 0x79, v97
	v_or_b32_e32 v58, 0x800000, v56
	v_cndmask_b32_e32 v57, 0, v57, vcc_lo
	v_cmp_eq_u32_e32 vcc_lo, 0, v97
	v_add_nc_u32_e32 v97, 0xffffff89, v97
	v_cndmask_b32_e64 v57, v57, 0x77, vcc_lo
	v_cndmask_b32_e32 v56, v58, v56, vcc_lo
	v_cndmask_b32_e64 v97, v97, 0xffffff8a, vcc_lo
	v_lshl_add_u32 v58, 0x100000, v57, -1
	v_lshrrev_b32_e32 v59, v57, v56
	v_lshlrev_b32_e64 v61, v57, 0x80000
	v_add_nc_u32_e32 v57, v57, v97
	v_and_b32_e32 v56, v58, v56
	v_bfe_u32 v60, v59, 20, 1
	v_cmp_eq_u32_e64 s10, v56, v61
	v_add_nc_u32_e32 v58, -1, v60
	v_cndmask_b32_e64 v56, 0, v58, s10
	v_lshrrev_b32_e32 v58, 23, v59
	s_mov_b32 s10, exec_lo
	v_add_nc_u32_e32 v56, v56, v59
	v_xor_b32_e32 v58, 1, v58
	v_and_b32_e32 v97, 0xfffff, v56
	v_add_nc_u32_e32 v56, v97, v59
                                        ; implicit-def: $vgpr97
	v_cmpx_ne_u32_e64 v57, v58
	s_xor_b32 s10, exec_lo, s10
; %bb.708:                              ;   in Loop: Header=BB4_625 Depth=2
	v_cmp_lt_u32_e32 vcc_lo, 0xffffff, v56
	v_sub_nc_u32_e32 v97, v57, v58
	v_cndmask_b32_e64 v57, 0, 1, vcc_lo
	v_add_co_ci_u32_e64 v97, null, 0, v97, vcc_lo
	v_lshrrev_b32_e32 v56, v57, v56
; %bb.709:                              ;   in Loop: Header=BB4_625 Depth=2
	s_andn2_saveexec_b32 s10, s10
; %bb.710:                              ;   in Loop: Header=BB4_625 Depth=2
	v_bfe_u32 v97, v56, 23, 1
; %bb.711:                              ;   in Loop: Header=BB4_625 Depth=2
	s_or_b32 exec_lo, exec_lo, s10
	v_lshrrev_b32_e32 v56, 20, v56
	v_min_i32_e32 v57, 15, v97
	v_cmp_gt_i32_e32 vcc_lo, 16, v97
	v_and_b32_sdwa v18, v18, v41 dst_sel:DWORD dst_unused:UNUSED_PAD src0_sel:BYTE_3 src1_sel:DWORD
	v_lshlrev_b32_e32 v57, 3, v57
	v_cndmask_b32_e32 v56, 7, v56, vcc_lo
	v_and_b32_e32 v57, 0xf8, v57
	v_and_b32_e32 v58, 7, v56
	v_or_b32_e32 v97, v97, v56
	v_or3_b32 v18, v18, v57, v58
	v_cmp_ne_u32_e32 vcc_lo, 0, v97
	v_lshlrev_b32_e32 v18, 8, v18
	v_cndmask_b32_e32 v97, 0, v18, vcc_lo
.LBB4_712:                              ;   in Loop: Header=BB4_625 Depth=2
	s_or_b32 exec_lo, exec_lo, s23
.LBB4_713:                              ;   in Loop: Header=BB4_625 Depth=2
	s_or_b32 exec_lo, exec_lo, s22
	v_and_b32_sdwa v56, v81, v44 dst_sel:DWORD dst_unused:UNUSED_PAD src0_sel:WORD_1 src1_sel:DWORD
	s_mov_b32 s10, 0
	s_mov_b32 s22, exec_lo
	v_cmpx_lt_i16_e32 0x7f, v56
	s_xor_b32 s22, exec_lo, s22
	s_cbranch_execnz .LBB4_907
; %bb.714:                              ;   in Loop: Header=BB4_625 Depth=2
	s_or_saveexec_b32 s22, s22
	v_mov_b32_e32 v18, 0x7f800001
	s_xor_b32 exec_lo, exec_lo, s22
	s_cbranch_execnz .LBB4_910
.LBB4_715:                              ;   in Loop: Header=BB4_625 Depth=2
	s_or_b32 exec_lo, exec_lo, s22
	s_and_saveexec_b32 s22, s10
	s_cbranch_execz .LBB4_717
.LBB4_716:                              ;   in Loop: Header=BB4_625 Depth=2
	v_bfe_u32 v18, v81, 16, 3
	v_bfe_u32 v58, v81, 19, 4
	v_lshlrev_b32_e32 v59, 8, v81
	v_ffbh_u32_e32 v56, v18
	v_cmp_eq_u32_e32 vcc_lo, 0, v58
	v_min_u32_e32 v56, 32, v56
	v_subrev_nc_u32_e32 v57, 28, v56
	v_sub_nc_u32_e32 v56, 29, v56
	v_lshlrev_b32_sdwa v57, v57, v81 dst_sel:DWORD dst_unused:UNUSED_PAD src0_sel:DWORD src1_sel:WORD_1
	v_cndmask_b32_e32 v56, v58, v56, vcc_lo
	v_and_b32_e32 v57, 7, v57
	v_lshl_add_u32 v56, v56, 23, 0x3b800000
	v_cndmask_b32_e32 v18, v18, v57, vcc_lo
	v_and_b32_e32 v57, 0x80000000, v59
	v_lshlrev_b32_e32 v18, 20, v18
	v_or3_b32 v18, v57, v56, v18
.LBB4_717:                              ;   in Loop: Header=BB4_625 Depth=2
	s_or_b32 exec_lo, exec_lo, s22
	v_mul_f32_e32 v56, v0, v18
	v_and_b32_e32 v18, 0x7f800000, v56
	v_cmp_ne_u32_e32 vcc_lo, 0x7f800000, v18
	v_mov_b32_e32 v18, 0x80
	s_and_saveexec_b32 s22, vcc_lo
	s_cbranch_execz .LBB4_725
; %bb.718:                              ;   in Loop: Header=BB4_625 Depth=2
	v_mov_b32_e32 v18, 0
	s_mov_b32 s23, exec_lo
	v_cmpx_ne_u32_e32 0, v56
	s_cbranch_execz .LBB4_724
; %bb.719:                              ;   in Loop: Header=BB4_625 Depth=2
	v_bfe_u32 v18, v56, 23, 8
	v_and_b32_e32 v57, 0x7fffff, v56
	v_sub_nc_u32_e32 v58, 0x78, v18
	v_cmp_gt_u32_e32 vcc_lo, 0x79, v18
	v_or_b32_e32 v59, 0x800000, v57
	v_cndmask_b32_e32 v58, 0, v58, vcc_lo
	v_cmp_eq_u32_e32 vcc_lo, 0, v18
	v_add_nc_u32_e32 v18, 0xffffff89, v18
	v_cndmask_b32_e64 v58, v58, 0x77, vcc_lo
	v_cndmask_b32_e32 v57, v59, v57, vcc_lo
	v_cndmask_b32_e64 v18, v18, 0xffffff8a, vcc_lo
	v_lshl_add_u32 v59, 0x100000, v58, -1
	v_lshrrev_b32_e32 v60, v58, v57
	v_lshlrev_b32_e64 v62, v58, 0x80000
	v_add_nc_u32_e32 v58, v58, v18
	v_and_b32_e32 v57, v59, v57
	v_bfe_u32 v61, v60, 20, 1
	v_cmp_eq_u32_e64 s10, v57, v62
	v_add_nc_u32_e32 v59, -1, v61
	v_cndmask_b32_e64 v57, 0, v59, s10
	v_lshrrev_b32_e32 v59, 23, v60
	s_mov_b32 s10, exec_lo
	v_add_nc_u32_e32 v57, v57, v60
	v_xor_b32_e32 v59, 1, v59
	v_and_b32_e32 v18, 0xfffff, v57
	v_add_nc_u32_e32 v57, v18, v60
                                        ; implicit-def: $vgpr18
	v_cmpx_ne_u32_e64 v58, v59
	s_xor_b32 s10, exec_lo, s10
; %bb.720:                              ;   in Loop: Header=BB4_625 Depth=2
	v_cmp_lt_u32_e32 vcc_lo, 0xffffff, v57
	v_sub_nc_u32_e32 v18, v58, v59
	v_cndmask_b32_e64 v58, 0, 1, vcc_lo
	v_add_co_ci_u32_e64 v18, null, 0, v18, vcc_lo
	v_lshrrev_b32_e32 v57, v58, v57
; %bb.721:                              ;   in Loop: Header=BB4_625 Depth=2
	s_andn2_saveexec_b32 s10, s10
; %bb.722:                              ;   in Loop: Header=BB4_625 Depth=2
	v_bfe_u32 v18, v57, 23, 1
; %bb.723:                              ;   in Loop: Header=BB4_625 Depth=2
	s_or_b32 exec_lo, exec_lo, s10
	v_lshrrev_b32_e32 v57, 20, v57
	v_min_i32_e32 v58, 15, v18
	v_cmp_gt_i32_e32 vcc_lo, 16, v18
	v_and_b32_sdwa v56, v56, v41 dst_sel:DWORD dst_unused:UNUSED_PAD src0_sel:BYTE_3 src1_sel:DWORD
	v_lshlrev_b32_e32 v58, 3, v58
	v_cndmask_b32_e32 v57, 7, v57, vcc_lo
	v_and_b32_e32 v58, 0xf8, v58
	v_and_b32_e32 v59, 7, v57
	v_or_b32_e32 v18, v18, v57
	v_or3_b32 v56, v58, v56, v59
	v_cmp_ne_u32_e32 vcc_lo, 0, v18
	v_cndmask_b32_e32 v18, 0, v56, vcc_lo
.LBB4_724:                              ;   in Loop: Header=BB4_625 Depth=2
	s_or_b32 exec_lo, exec_lo, s23
.LBB4_725:                              ;   in Loop: Header=BB4_625 Depth=2
	s_or_b32 exec_lo, exec_lo, s22
	v_cmp_gt_i16_sdwa s22, v81, v40 src0_sel:BYTE_3 src1_sel:DWORD
	s_mov_b32 s10, 0
	s_and_saveexec_b32 s23, s22
	s_xor_b32 s22, exec_lo, s23
	s_cbranch_execnz .LBB4_911
; %bb.726:                              ;   in Loop: Header=BB4_625 Depth=2
	s_or_saveexec_b32 s22, s22
	v_mov_b32_e32 v56, 0x7f800001
	s_xor_b32 exec_lo, exec_lo, s22
	s_cbranch_execnz .LBB4_914
.LBB4_727:                              ;   in Loop: Header=BB4_625 Depth=2
	s_or_b32 exec_lo, exec_lo, s22
	s_and_saveexec_b32 s22, s10
	s_cbranch_execz .LBB4_729
.LBB4_728:                              ;   in Loop: Header=BB4_625 Depth=2
	v_bfe_u32 v56, v81, 24, 3
	v_bfe_u32 v59, v81, 27, 4
	v_ffbh_u32_e32 v57, v56
	v_cmp_eq_u32_e32 vcc_lo, 0, v59
	v_min_u32_e32 v57, 32, v57
	v_subrev_nc_u32_e32 v58, 28, v57
	v_sub_nc_u32_e32 v57, 29, v57
	v_lshlrev_b32_sdwa v58, v58, v81 dst_sel:DWORD dst_unused:UNUSED_PAD src0_sel:DWORD src1_sel:BYTE_3
	v_cndmask_b32_e32 v57, v59, v57, vcc_lo
	v_and_b32_e32 v81, 0x80000000, v81
	v_and_b32_e32 v58, 7, v58
	v_lshl_add_u32 v57, v57, 23, 0x3b800000
	v_cndmask_b32_e32 v56, v56, v58, vcc_lo
	v_lshlrev_b32_e32 v56, 20, v56
	v_or3_b32 v56, v81, v57, v56
.LBB4_729:                              ;   in Loop: Header=BB4_625 Depth=2
	s_or_b32 exec_lo, exec_lo, s22
	v_mul_f32_e32 v56, v0, v56
	v_and_b32_e32 v81, 0x7f800000, v56
	v_cmp_ne_u32_e32 vcc_lo, 0x7f800000, v81
	v_mov_b32_e32 v81, 0x8000
	s_and_saveexec_b32 s22, vcc_lo
	s_cbranch_execz .LBB4_737
; %bb.730:                              ;   in Loop: Header=BB4_625 Depth=2
	v_mov_b32_e32 v81, 0
	s_mov_b32 s23, exec_lo
	v_cmpx_ne_u32_e32 0, v56
	s_cbranch_execz .LBB4_736
; %bb.731:                              ;   in Loop: Header=BB4_625 Depth=2
	v_bfe_u32 v81, v56, 23, 8
	v_and_b32_e32 v57, 0x7fffff, v56
	v_sub_nc_u32_e32 v58, 0x78, v81
	v_cmp_gt_u32_e32 vcc_lo, 0x79, v81
	v_or_b32_e32 v59, 0x800000, v57
	v_cndmask_b32_e32 v58, 0, v58, vcc_lo
	v_cmp_eq_u32_e32 vcc_lo, 0, v81
	v_add_nc_u32_e32 v81, 0xffffff89, v81
	v_cndmask_b32_e64 v58, v58, 0x77, vcc_lo
	v_cndmask_b32_e32 v57, v59, v57, vcc_lo
	v_cndmask_b32_e64 v81, v81, 0xffffff8a, vcc_lo
	v_lshl_add_u32 v59, 0x100000, v58, -1
	v_lshrrev_b32_e32 v60, v58, v57
	v_lshlrev_b32_e64 v62, v58, 0x80000
	v_add_nc_u32_e32 v58, v58, v81
	v_and_b32_e32 v57, v59, v57
	v_bfe_u32 v61, v60, 20, 1
	v_cmp_eq_u32_e64 s10, v57, v62
	v_add_nc_u32_e32 v59, -1, v61
	v_cndmask_b32_e64 v57, 0, v59, s10
	v_lshrrev_b32_e32 v59, 23, v60
	s_mov_b32 s10, exec_lo
	v_add_nc_u32_e32 v57, v57, v60
	v_xor_b32_e32 v59, 1, v59
	v_and_b32_e32 v81, 0xfffff, v57
	v_add_nc_u32_e32 v57, v81, v60
                                        ; implicit-def: $vgpr81
	v_cmpx_ne_u32_e64 v58, v59
	s_xor_b32 s10, exec_lo, s10
; %bb.732:                              ;   in Loop: Header=BB4_625 Depth=2
	v_cmp_lt_u32_e32 vcc_lo, 0xffffff, v57
	v_sub_nc_u32_e32 v81, v58, v59
	v_cndmask_b32_e64 v58, 0, 1, vcc_lo
	v_add_co_ci_u32_e64 v81, null, 0, v81, vcc_lo
	v_lshrrev_b32_e32 v57, v58, v57
; %bb.733:                              ;   in Loop: Header=BB4_625 Depth=2
	s_andn2_saveexec_b32 s10, s10
; %bb.734:                              ;   in Loop: Header=BB4_625 Depth=2
	v_bfe_u32 v81, v57, 23, 1
; %bb.735:                              ;   in Loop: Header=BB4_625 Depth=2
	s_or_b32 exec_lo, exec_lo, s10
	v_lshrrev_b32_e32 v57, 20, v57
	v_min_i32_e32 v58, 15, v81
	v_cmp_gt_i32_e32 vcc_lo, 16, v81
	v_and_b32_sdwa v56, v56, v41 dst_sel:DWORD dst_unused:UNUSED_PAD src0_sel:BYTE_3 src1_sel:DWORD
	v_lshlrev_b32_e32 v58, 3, v58
	v_cndmask_b32_e32 v57, 7, v57, vcc_lo
	v_and_b32_e32 v58, 0xf8, v58
	v_and_b32_e32 v59, 7, v57
	v_or_b32_e32 v81, v81, v57
	v_or3_b32 v56, v56, v58, v59
	v_cmp_ne_u32_e32 vcc_lo, 0, v81
	v_lshlrev_b32_e32 v56, 8, v56
	v_cndmask_b32_e32 v81, 0, v56, vcc_lo
.LBB4_736:                              ;   in Loop: Header=BB4_625 Depth=2
	s_or_b32 exec_lo, exec_lo, s23
.LBB4_737:                              ;   in Loop: Header=BB4_625 Depth=2
	s_or_b32 exec_lo, exec_lo, s22
	v_cmp_gt_i16_sdwa s22, v17, v40 src0_sel:BYTE_0 src1_sel:DWORD
	s_mov_b32 s10, 0
	s_and_saveexec_b32 s23, s22
	s_xor_b32 s22, exec_lo, s23
	s_cbranch_execnz .LBB4_915
; %bb.738:                              ;   in Loop: Header=BB4_625 Depth=2
	s_or_saveexec_b32 s22, s22
	v_mov_b32_e32 v57, 0x7f800001
	s_xor_b32 exec_lo, exec_lo, s22
	s_cbranch_execnz .LBB4_918
.LBB4_739:                              ;   in Loop: Header=BB4_625 Depth=2
	s_or_b32 exec_lo, exec_lo, s22
	s_and_saveexec_b32 s22, s10
	s_cbranch_execz .LBB4_741
.LBB4_740:                              ;   in Loop: Header=BB4_625 Depth=2
	v_and_b32_e32 v56, 7, v17
	v_bfe_u32 v59, v17, 3, 4
	v_lshlrev_b32_e32 v60, 24, v17
	v_ffbh_u32_e32 v57, v56
	v_cmp_eq_u32_e32 vcc_lo, 0, v59
	v_min_u32_e32 v57, 32, v57
	v_subrev_nc_u32_e32 v58, 28, v57
	v_sub_nc_u32_e32 v57, 29, v57
	v_lshlrev_b32_e32 v58, v58, v17
	v_cndmask_b32_e32 v57, v59, v57, vcc_lo
	v_and_b32_e32 v58, 7, v58
	v_lshl_add_u32 v57, v57, 23, 0x3b800000
	v_cndmask_b32_e32 v56, v56, v58, vcc_lo
	v_and_b32_e32 v58, 0x80000000, v60
	v_lshlrev_b32_e32 v56, 20, v56
	v_or3_b32 v57, v58, v57, v56
.LBB4_741:                              ;   in Loop: Header=BB4_625 Depth=2
	s_or_b32 exec_lo, exec_lo, s22
	v_or_b32_e32 v56, v82, v20
	s_mov_b32 s10, 0
	v_cmp_gt_i16_sdwa s22, v56, v40 src0_sel:BYTE_0 src1_sel:DWORD
	s_and_saveexec_b32 s23, s22
	s_xor_b32 s22, exec_lo, s23
	s_cbranch_execnz .LBB4_919
; %bb.742:                              ;   in Loop: Header=BB4_625 Depth=2
	s_or_saveexec_b32 s22, s22
	v_mov_b32_e32 v20, 0x7f800001
	s_xor_b32 exec_lo, exec_lo, s22
	s_cbranch_execnz .LBB4_922
.LBB4_743:                              ;   in Loop: Header=BB4_625 Depth=2
	s_or_b32 exec_lo, exec_lo, s22
	s_and_saveexec_b32 s22, s10
	s_cbranch_execz .LBB4_745
.LBB4_744:                              ;   in Loop: Header=BB4_625 Depth=2
	v_and_b32_e32 v20, 7, v56
	v_bfe_u32 v59, v56, 3, 4
	v_lshlrev_b32_e32 v60, 24, v56
	v_ffbh_u32_e32 v82, v20
	v_cmp_eq_u32_e32 vcc_lo, 0, v59
	v_min_u32_e32 v82, 32, v82
	v_subrev_nc_u32_e32 v58, 28, v82
	v_sub_nc_u32_e32 v82, 29, v82
	v_lshlrev_b32_e32 v58, v58, v56
	v_cndmask_b32_e32 v82, v59, v82, vcc_lo
	v_and_b32_e32 v58, 7, v58
	v_lshl_add_u32 v82, v82, 23, 0x3b800000
	v_cndmask_b32_e32 v20, v20, v58, vcc_lo
	v_and_b32_e32 v58, 0x80000000, v60
	v_lshlrev_b32_e32 v20, 20, v20
	v_or3_b32 v20, v58, v82, v20
.LBB4_745:                              ;   in Loop: Header=BB4_625 Depth=2
	s_or_b32 exec_lo, exec_lo, s22
	v_add_f32_e32 v82, v57, v20
	v_and_b32_e32 v20, 0x7f800000, v82
	v_cmp_ne_u32_e32 vcc_lo, 0x7f800000, v20
	v_mov_b32_e32 v20, 0x80
	s_and_saveexec_b32 s22, vcc_lo
	s_cbranch_execz .LBB4_753
; %bb.746:                              ;   in Loop: Header=BB4_625 Depth=2
	v_mov_b32_e32 v20, 0
	s_mov_b32 s23, exec_lo
	v_cmpx_ne_u32_e32 0, v82
	s_cbranch_execz .LBB4_752
; %bb.747:                              ;   in Loop: Header=BB4_625 Depth=2
	v_bfe_u32 v20, v82, 23, 8
	v_and_b32_e32 v57, 0x7fffff, v82
	v_sub_nc_u32_e32 v58, 0x78, v20
	v_cmp_gt_u32_e32 vcc_lo, 0x79, v20
	v_or_b32_e32 v59, 0x800000, v57
	v_cndmask_b32_e32 v58, 0, v58, vcc_lo
	v_cmp_eq_u32_e32 vcc_lo, 0, v20
	v_add_nc_u32_e32 v20, 0xffffff89, v20
	v_cndmask_b32_e64 v58, v58, 0x77, vcc_lo
	v_cndmask_b32_e32 v57, v59, v57, vcc_lo
	v_cndmask_b32_e64 v20, v20, 0xffffff8a, vcc_lo
	v_lshl_add_u32 v59, 0x100000, v58, -1
	v_lshrrev_b32_e32 v60, v58, v57
	v_lshlrev_b32_e64 v62, v58, 0x80000
	v_add_nc_u32_e32 v58, v58, v20
	v_and_b32_e32 v57, v59, v57
	v_bfe_u32 v61, v60, 20, 1
	v_cmp_eq_u32_e64 s10, v57, v62
	v_add_nc_u32_e32 v59, -1, v61
	v_cndmask_b32_e64 v57, 0, v59, s10
	v_lshrrev_b32_e32 v59, 23, v60
	s_mov_b32 s10, exec_lo
	v_add_nc_u32_e32 v57, v57, v60
	v_xor_b32_e32 v59, 1, v59
	v_and_b32_e32 v20, 0xfffff, v57
	v_add_nc_u32_e32 v57, v20, v60
                                        ; implicit-def: $vgpr20
	v_cmpx_ne_u32_e64 v58, v59
	s_xor_b32 s10, exec_lo, s10
; %bb.748:                              ;   in Loop: Header=BB4_625 Depth=2
	v_cmp_lt_u32_e32 vcc_lo, 0xffffff, v57
	v_sub_nc_u32_e32 v20, v58, v59
	v_cndmask_b32_e64 v58, 0, 1, vcc_lo
	v_add_co_ci_u32_e64 v20, null, 0, v20, vcc_lo
	v_lshrrev_b32_e32 v57, v58, v57
; %bb.749:                              ;   in Loop: Header=BB4_625 Depth=2
	s_andn2_saveexec_b32 s10, s10
; %bb.750:                              ;   in Loop: Header=BB4_625 Depth=2
	v_bfe_u32 v20, v57, 23, 1
; %bb.751:                              ;   in Loop: Header=BB4_625 Depth=2
	s_or_b32 exec_lo, exec_lo, s10
	v_lshrrev_b32_e32 v57, 20, v57
	v_min_i32_e32 v58, 15, v20
	v_cmp_gt_i32_e32 vcc_lo, 16, v20
	v_and_b32_sdwa v82, v82, v41 dst_sel:DWORD dst_unused:UNUSED_PAD src0_sel:BYTE_3 src1_sel:DWORD
	v_lshlrev_b32_e32 v58, 3, v58
	v_cndmask_b32_e32 v57, 7, v57, vcc_lo
	v_and_b32_e32 v58, 0xf8, v58
	v_and_b32_e32 v59, 7, v57
	v_or_b32_e32 v20, v20, v57
	v_or3_b32 v82, v58, v82, v59
	v_cmp_ne_u32_e32 vcc_lo, 0, v20
	v_cndmask_b32_e32 v20, 0, v82, vcc_lo
.LBB4_752:                              ;   in Loop: Header=BB4_625 Depth=2
	s_or_b32 exec_lo, exec_lo, s23
.LBB4_753:                              ;   in Loop: Header=BB4_625 Depth=2
	s_or_b32 exec_lo, exec_lo, s22
	v_cmp_gt_i16_sdwa s22, v17, v40 src0_sel:BYTE_1 src1_sel:DWORD
	s_mov_b32 s10, 0
	s_and_saveexec_b32 s23, s22
	s_xor_b32 s22, exec_lo, s23
	s_cbranch_execnz .LBB4_923
; %bb.754:                              ;   in Loop: Header=BB4_625 Depth=2
	s_or_saveexec_b32 s22, s22
	v_mov_b32_e32 v82, 0x7f800001
	s_xor_b32 exec_lo, exec_lo, s22
	s_cbranch_execnz .LBB4_926
.LBB4_755:                              ;   in Loop: Header=BB4_625 Depth=2
	s_or_b32 exec_lo, exec_lo, s22
	s_and_saveexec_b32 s22, s10
	s_cbranch_execz .LBB4_757
.LBB4_756:                              ;   in Loop: Header=BB4_625 Depth=2
	v_and_b32_sdwa v82, v42, v17 dst_sel:DWORD dst_unused:UNUSED_PAD src0_sel:DWORD src1_sel:BYTE_1
	v_and_b32_e32 v57, 7, v82
	v_bfe_u32 v60, v82, 3, 4
	v_ffbh_u32_e32 v58, v57
	v_cmp_eq_u32_e32 vcc_lo, 0, v60
	v_min_u32_e32 v58, 32, v58
	v_subrev_nc_u32_e32 v59, 28, v58
	v_sub_nc_u32_e32 v58, 29, v58
	v_lshlrev_b32_e32 v82, v59, v82
	v_lshlrev_b32_sdwa v59, v43, v17 dst_sel:DWORD dst_unused:UNUSED_PAD src0_sel:DWORD src1_sel:BYTE_1
	v_cndmask_b32_e32 v58, v60, v58, vcc_lo
	v_and_b32_e32 v82, 7, v82
	v_lshl_add_u32 v58, v58, 23, 0x3b800000
	v_cndmask_b32_e32 v82, v57, v82, vcc_lo
	v_and_b32_e32 v57, 0x80000000, v59
	v_lshlrev_b32_e32 v82, 20, v82
	v_or3_b32 v82, v57, v58, v82
.LBB4_757:                              ;   in Loop: Header=BB4_625 Depth=2
	s_or_b32 exec_lo, exec_lo, s22
	v_cmp_gt_i16_sdwa s22, v56, v40 src0_sel:BYTE_1 src1_sel:DWORD
	s_mov_b32 s10, 0
	s_and_saveexec_b32 s23, s22
	s_xor_b32 s22, exec_lo, s23
	s_cbranch_execnz .LBB4_927
; %bb.758:                              ;   in Loop: Header=BB4_625 Depth=2
	s_or_saveexec_b32 s22, s22
	v_mov_b32_e32 v57, 0x7f800001
	s_xor_b32 exec_lo, exec_lo, s22
	s_cbranch_execnz .LBB4_930
.LBB4_759:                              ;   in Loop: Header=BB4_625 Depth=2
	s_or_b32 exec_lo, exec_lo, s22
	s_and_saveexec_b32 s22, s10
	s_cbranch_execz .LBB4_761
.LBB4_760:                              ;   in Loop: Header=BB4_625 Depth=2
	v_and_b32_sdwa v57, v42, v56 dst_sel:DWORD dst_unused:UNUSED_PAD src0_sel:DWORD src1_sel:BYTE_1
	v_and_b32_e32 v58, 7, v57
	v_bfe_u32 v61, v57, 3, 4
	v_ffbh_u32_e32 v59, v58
	v_cmp_eq_u32_e32 vcc_lo, 0, v61
	v_min_u32_e32 v59, 32, v59
	v_subrev_nc_u32_e32 v60, 28, v59
	v_sub_nc_u32_e32 v59, 29, v59
	v_lshlrev_b32_e32 v57, v60, v57
	v_lshlrev_b32_sdwa v60, v43, v56 dst_sel:DWORD dst_unused:UNUSED_PAD src0_sel:DWORD src1_sel:BYTE_1
	v_cndmask_b32_e32 v59, v61, v59, vcc_lo
	v_and_b32_e32 v57, 7, v57
	v_lshl_add_u32 v59, v59, 23, 0x3b800000
	v_cndmask_b32_e32 v57, v58, v57, vcc_lo
	v_and_b32_e32 v58, 0x80000000, v60
	v_lshlrev_b32_e32 v57, 20, v57
	v_or3_b32 v57, v58, v59, v57
.LBB4_761:                              ;   in Loop: Header=BB4_625 Depth=2
	s_or_b32 exec_lo, exec_lo, s22
	v_add_f32_e32 v57, v82, v57
	v_and_b32_e32 v82, 0x7f800000, v57
	v_cmp_ne_u32_e32 vcc_lo, 0x7f800000, v82
	v_mov_b32_e32 v82, 0x8000
	s_and_saveexec_b32 s22, vcc_lo
	s_cbranch_execz .LBB4_769
; %bb.762:                              ;   in Loop: Header=BB4_625 Depth=2
	v_mov_b32_e32 v82, 0
	s_mov_b32 s23, exec_lo
	v_cmpx_ne_u32_e32 0, v57
	s_cbranch_execz .LBB4_768
; %bb.763:                              ;   in Loop: Header=BB4_625 Depth=2
	v_bfe_u32 v58, v57, 23, 8
	v_and_b32_e32 v82, 0x7fffff, v57
	v_cmp_gt_u32_e64 s10, 0x79, v58
	v_sub_nc_u32_e32 v59, 0x78, v58
	v_cmp_eq_u32_e32 vcc_lo, 0, v58
	v_or_b32_e32 v60, 0x800000, v82
	v_add_nc_u32_e32 v58, 0xffffff89, v58
	v_cndmask_b32_e64 v59, 0, v59, s10
	v_cndmask_b32_e32 v82, v60, v82, vcc_lo
	v_cndmask_b32_e64 v58, v58, 0xffffff8a, vcc_lo
	v_cndmask_b32_e64 v59, v59, 0x77, vcc_lo
	v_lshl_add_u32 v60, 0x100000, v59, -1
	v_lshlrev_b32_e64 v61, v59, 0x80000
	v_and_b32_e32 v60, v60, v82
	v_lshrrev_b32_e32 v82, v59, v82
	v_add_nc_u32_e32 v59, v59, v58
	v_cmp_eq_u32_e64 s10, v60, v61
	v_lshrrev_b32_e32 v58, 23, v82
	v_xor_b32_e32 v60, 1, v58
	v_bfe_u32 v58, v82, 20, 1
	v_add_nc_u32_e32 v58, -1, v58
	v_cndmask_b32_e64 v58, 0, v58, s10
	s_mov_b32 s10, exec_lo
	v_add_nc_u32_e32 v58, v58, v82
	v_and_b32_e32 v58, 0xfffff, v58
	v_add_nc_u32_e32 v58, v58, v82
                                        ; implicit-def: $vgpr82
	v_cmpx_ne_u32_e64 v59, v60
	s_xor_b32 s10, exec_lo, s10
; %bb.764:                              ;   in Loop: Header=BB4_625 Depth=2
	v_cmp_lt_u32_e32 vcc_lo, 0xffffff, v58
	v_sub_nc_u32_e32 v82, v59, v60
	v_cndmask_b32_e64 v59, 0, 1, vcc_lo
	v_add_co_ci_u32_e64 v82, null, 0, v82, vcc_lo
	v_lshrrev_b32_e32 v58, v59, v58
; %bb.765:                              ;   in Loop: Header=BB4_625 Depth=2
	s_andn2_saveexec_b32 s10, s10
; %bb.766:                              ;   in Loop: Header=BB4_625 Depth=2
	v_bfe_u32 v82, v58, 23, 1
; %bb.767:                              ;   in Loop: Header=BB4_625 Depth=2
	s_or_b32 exec_lo, exec_lo, s10
	v_lshrrev_b32_e32 v58, 20, v58
	v_min_i32_e32 v59, 15, v82
	v_cmp_gt_i32_e32 vcc_lo, 16, v82
	v_and_b32_sdwa v57, v57, v41 dst_sel:DWORD dst_unused:UNUSED_PAD src0_sel:BYTE_3 src1_sel:DWORD
	v_lshlrev_b32_e32 v59, 3, v59
	v_cndmask_b32_e32 v58, 7, v58, vcc_lo
	v_and_b32_e32 v59, 0xf8, v59
	v_and_b32_e32 v60, 7, v58
	v_or_b32_e32 v82, v82, v58
	v_or3_b32 v57, v57, v59, v60
	v_cmp_ne_u32_e32 vcc_lo, 0, v82
	v_lshlrev_b32_e32 v57, 8, v57
	v_cndmask_b32_e32 v82, 0, v57, vcc_lo
.LBB4_768:                              ;   in Loop: Header=BB4_625 Depth=2
	s_or_b32 exec_lo, exec_lo, s23
.LBB4_769:                              ;   in Loop: Header=BB4_625 Depth=2
	s_or_b32 exec_lo, exec_lo, s22
	v_and_b32_sdwa v58, v17, v44 dst_sel:DWORD dst_unused:UNUSED_PAD src0_sel:WORD_1 src1_sel:DWORD
	s_mov_b32 s10, 0
	s_mov_b32 s22, exec_lo
	v_cmpx_lt_i16_e32 0x7f, v58
	s_xor_b32 s22, exec_lo, s22
	s_cbranch_execnz .LBB4_931
; %bb.770:                              ;   in Loop: Header=BB4_625 Depth=2
	s_or_saveexec_b32 s22, s22
	v_mov_b32_e32 v57, 0x7f800001
	s_xor_b32 exec_lo, exec_lo, s22
	s_cbranch_execnz .LBB4_934
.LBB4_771:                              ;   in Loop: Header=BB4_625 Depth=2
	s_or_b32 exec_lo, exec_lo, s22
	s_and_saveexec_b32 s22, s10
	s_cbranch_execz .LBB4_773
.LBB4_772:                              ;   in Loop: Header=BB4_625 Depth=2
	v_bfe_u32 v57, v17, 16, 3
	v_bfe_u32 v60, v17, 19, 4
	v_lshlrev_b32_e32 v61, 8, v17
	v_ffbh_u32_e32 v58, v57
	v_cmp_eq_u32_e32 vcc_lo, 0, v60
	v_min_u32_e32 v58, 32, v58
	v_subrev_nc_u32_e32 v59, 28, v58
	v_sub_nc_u32_e32 v58, 29, v58
	v_lshlrev_b32_sdwa v59, v59, v17 dst_sel:DWORD dst_unused:UNUSED_PAD src0_sel:DWORD src1_sel:WORD_1
	v_cndmask_b32_e32 v58, v60, v58, vcc_lo
	v_and_b32_e32 v59, 7, v59
	v_lshl_add_u32 v58, v58, 23, 0x3b800000
	v_cndmask_b32_e32 v57, v57, v59, vcc_lo
	v_and_b32_e32 v59, 0x80000000, v61
	v_lshlrev_b32_e32 v57, 20, v57
	v_or3_b32 v57, v59, v58, v57
.LBB4_773:                              ;   in Loop: Header=BB4_625 Depth=2
	s_or_b32 exec_lo, exec_lo, s22
	v_or_b32_e32 v96, v47, v96
	s_mov_b32 s10, 0
	v_cmp_gt_i16_sdwa s22, v96, v40 src0_sel:BYTE_0 src1_sel:DWORD
	s_and_saveexec_b32 s23, s22
	s_xor_b32 s22, exec_lo, s23
	s_cbranch_execnz .LBB4_935
; %bb.774:                              ;   in Loop: Header=BB4_625 Depth=2
	s_or_saveexec_b32 s22, s22
	v_mov_b32_e32 v58, 0x7f800001
	s_xor_b32 exec_lo, exec_lo, s22
	s_cbranch_execnz .LBB4_938
.LBB4_775:                              ;   in Loop: Header=BB4_625 Depth=2
	s_or_b32 exec_lo, exec_lo, s22
	v_lshl_or_b32 v47, v96, 16, v56
	s_and_saveexec_b32 s22, s10
	s_cbranch_execz .LBB4_777
.LBB4_776:                              ;   in Loop: Header=BB4_625 Depth=2
	v_bfe_u32 v96, v47, 16, 3
	v_bfe_u32 v59, v47, 19, 4
	v_lshlrev_b32_e32 v60, 8, v47
	v_ffbh_u32_e32 v56, v96
	v_cmp_eq_u32_e32 vcc_lo, 0, v59
	v_min_u32_e32 v56, 32, v56
	v_subrev_nc_u32_e32 v58, 28, v56
	v_sub_nc_u32_e32 v56, 29, v56
	v_lshlrev_b32_sdwa v58, v58, v47 dst_sel:DWORD dst_unused:UNUSED_PAD src0_sel:DWORD src1_sel:WORD_1
	v_cndmask_b32_e32 v56, v59, v56, vcc_lo
	v_and_b32_e32 v58, 7, v58
	v_lshl_add_u32 v56, v56, 23, 0x3b800000
	v_cndmask_b32_e32 v96, v96, v58, vcc_lo
	v_and_b32_e32 v58, 0x80000000, v60
	v_lshlrev_b32_e32 v96, 20, v96
	v_or3_b32 v58, v58, v56, v96
.LBB4_777:                              ;   in Loop: Header=BB4_625 Depth=2
	s_or_b32 exec_lo, exec_lo, s22
	v_add_f32_e32 v56, v57, v58
	v_and_b32_e32 v96, 0x7f800000, v56
	v_cmp_ne_u32_e32 vcc_lo, 0x7f800000, v96
	v_mov_b32_e32 v96, 0x80
	s_and_saveexec_b32 s22, vcc_lo
	s_cbranch_execz .LBB4_785
; %bb.778:                              ;   in Loop: Header=BB4_625 Depth=2
	v_mov_b32_e32 v96, 0
	s_mov_b32 s23, exec_lo
	v_cmpx_ne_u32_e32 0, v56
	s_cbranch_execz .LBB4_784
; %bb.779:                              ;   in Loop: Header=BB4_625 Depth=2
	v_bfe_u32 v96, v56, 23, 8
	v_and_b32_e32 v57, 0x7fffff, v56
	v_sub_nc_u32_e32 v58, 0x78, v96
	v_cmp_gt_u32_e32 vcc_lo, 0x79, v96
	v_or_b32_e32 v59, 0x800000, v57
	v_cndmask_b32_e32 v58, 0, v58, vcc_lo
	v_cmp_eq_u32_e32 vcc_lo, 0, v96
	v_add_nc_u32_e32 v96, 0xffffff89, v96
	v_cndmask_b32_e64 v58, v58, 0x77, vcc_lo
	v_cndmask_b32_e32 v57, v59, v57, vcc_lo
	v_cndmask_b32_e64 v96, v96, 0xffffff8a, vcc_lo
	v_lshl_add_u32 v59, 0x100000, v58, -1
	v_lshrrev_b32_e32 v60, v58, v57
	v_lshlrev_b32_e64 v62, v58, 0x80000
	v_add_nc_u32_e32 v58, v58, v96
	v_and_b32_e32 v57, v59, v57
	v_bfe_u32 v61, v60, 20, 1
	v_cmp_eq_u32_e64 s10, v57, v62
	v_add_nc_u32_e32 v59, -1, v61
	v_cndmask_b32_e64 v57, 0, v59, s10
	v_lshrrev_b32_e32 v59, 23, v60
	s_mov_b32 s10, exec_lo
	v_add_nc_u32_e32 v57, v57, v60
	v_xor_b32_e32 v59, 1, v59
	v_and_b32_e32 v96, 0xfffff, v57
	v_add_nc_u32_e32 v57, v96, v60
                                        ; implicit-def: $vgpr96
	v_cmpx_ne_u32_e64 v58, v59
	s_xor_b32 s10, exec_lo, s10
; %bb.780:                              ;   in Loop: Header=BB4_625 Depth=2
	v_cmp_lt_u32_e32 vcc_lo, 0xffffff, v57
	v_sub_nc_u32_e32 v96, v58, v59
	v_cndmask_b32_e64 v58, 0, 1, vcc_lo
	v_add_co_ci_u32_e64 v96, null, 0, v96, vcc_lo
	v_lshrrev_b32_e32 v57, v58, v57
; %bb.781:                              ;   in Loop: Header=BB4_625 Depth=2
	s_andn2_saveexec_b32 s10, s10
; %bb.782:                              ;   in Loop: Header=BB4_625 Depth=2
	v_bfe_u32 v96, v57, 23, 1
; %bb.783:                              ;   in Loop: Header=BB4_625 Depth=2
	s_or_b32 exec_lo, exec_lo, s10
	v_lshrrev_b32_e32 v57, 20, v57
	v_min_i32_e32 v58, 15, v96
	v_cmp_gt_i32_e32 vcc_lo, 16, v96
	v_and_b32_sdwa v56, v56, v41 dst_sel:DWORD dst_unused:UNUSED_PAD src0_sel:BYTE_3 src1_sel:DWORD
	v_lshlrev_b32_e32 v58, 3, v58
	v_cndmask_b32_e32 v57, 7, v57, vcc_lo
	v_and_b32_e32 v58, 0xf8, v58
	v_and_b32_e32 v59, 7, v57
	v_or_b32_e32 v96, v96, v57
	v_or3_b32 v56, v58, v56, v59
	v_cmp_ne_u32_e32 vcc_lo, 0, v96
	v_cndmask_b32_e32 v96, 0, v56, vcc_lo
.LBB4_784:                              ;   in Loop: Header=BB4_625 Depth=2
	s_or_b32 exec_lo, exec_lo, s23
.LBB4_785:                              ;   in Loop: Header=BB4_625 Depth=2
	s_or_b32 exec_lo, exec_lo, s22
	v_cmp_gt_i16_sdwa s22, v17, v40 src0_sel:BYTE_3 src1_sel:DWORD
	s_mov_b32 s10, 0
	s_and_saveexec_b32 s23, s22
	s_xor_b32 s22, exec_lo, s23
	s_cbranch_execnz .LBB4_939
; %bb.786:                              ;   in Loop: Header=BB4_625 Depth=2
	s_or_saveexec_b32 s22, s22
	v_mov_b32_e32 v56, 0x7f800001
	s_xor_b32 exec_lo, exec_lo, s22
	s_cbranch_execnz .LBB4_942
.LBB4_787:                              ;   in Loop: Header=BB4_625 Depth=2
	s_or_b32 exec_lo, exec_lo, s22
	s_and_saveexec_b32 s22, s10
	s_cbranch_execz .LBB4_789
.LBB4_788:                              ;   in Loop: Header=BB4_625 Depth=2
	v_bfe_u32 v56, v17, 24, 3
	v_bfe_u32 v59, v17, 27, 4
	v_ffbh_u32_e32 v57, v56
	v_cmp_eq_u32_e32 vcc_lo, 0, v59
	v_min_u32_e32 v57, 32, v57
	v_subrev_nc_u32_e32 v58, 28, v57
	v_sub_nc_u32_e32 v57, 29, v57
	v_lshlrev_b32_sdwa v58, v58, v17 dst_sel:DWORD dst_unused:UNUSED_PAD src0_sel:DWORD src1_sel:BYTE_3
	v_cndmask_b32_e32 v57, v59, v57, vcc_lo
	v_and_b32_e32 v17, 0x80000000, v17
	v_and_b32_e32 v58, 7, v58
	v_lshl_add_u32 v57, v57, 23, 0x3b800000
	v_cndmask_b32_e32 v56, v56, v58, vcc_lo
	v_lshlrev_b32_e32 v56, 20, v56
	v_or3_b32 v56, v17, v57, v56
.LBB4_789:                              ;   in Loop: Header=BB4_625 Depth=2
	s_or_b32 exec_lo, exec_lo, s22
	v_cmp_gt_i16_sdwa s22, v47, v40 src0_sel:BYTE_3 src1_sel:DWORD
	s_mov_b32 s10, 0
	s_and_saveexec_b32 s23, s22
	s_xor_b32 s22, exec_lo, s23
	s_cbranch_execnz .LBB4_943
; %bb.790:                              ;   in Loop: Header=BB4_625 Depth=2
	s_or_saveexec_b32 s22, s22
	v_mov_b32_e32 v17, 0x7f800001
	s_xor_b32 exec_lo, exec_lo, s22
	s_cbranch_execnz .LBB4_946
.LBB4_791:                              ;   in Loop: Header=BB4_625 Depth=2
	s_or_b32 exec_lo, exec_lo, s22
	s_and_saveexec_b32 s22, s10
	s_cbranch_execz .LBB4_793
.LBB4_792:                              ;   in Loop: Header=BB4_625 Depth=2
	v_bfe_u32 v17, v47, 24, 3
	v_bfe_u32 v59, v47, 27, 4
	v_ffbh_u32_e32 v57, v17
	v_cmp_eq_u32_e32 vcc_lo, 0, v59
	v_min_u32_e32 v57, 32, v57
	v_subrev_nc_u32_e32 v58, 28, v57
	v_sub_nc_u32_e32 v57, 29, v57
	v_lshlrev_b32_sdwa v58, v58, v47 dst_sel:DWORD dst_unused:UNUSED_PAD src0_sel:DWORD src1_sel:BYTE_3
	v_cndmask_b32_e32 v57, v59, v57, vcc_lo
	v_and_b32_e32 v47, 0x80000000, v47
	v_and_b32_e32 v58, 7, v58
	v_lshl_add_u32 v57, v57, 23, 0x3b800000
	v_cndmask_b32_e32 v17, v17, v58, vcc_lo
	v_lshlrev_b32_e32 v17, 20, v17
	v_or3_b32 v17, v47, v57, v17
.LBB4_793:                              ;   in Loop: Header=BB4_625 Depth=2
	s_or_b32 exec_lo, exec_lo, s22
	v_add_f32_e32 v47, v56, v17
	v_and_b32_e32 v17, 0x7f800000, v47
	v_cmp_ne_u32_e32 vcc_lo, 0x7f800000, v17
	v_mov_b32_e32 v17, 0x8000
	s_and_saveexec_b32 s22, vcc_lo
	s_cbranch_execz .LBB4_801
; %bb.794:                              ;   in Loop: Header=BB4_625 Depth=2
	v_mov_b32_e32 v17, 0
	s_mov_b32 s23, exec_lo
	v_cmpx_ne_u32_e32 0, v47
	s_cbranch_execz .LBB4_800
; %bb.795:                              ;   in Loop: Header=BB4_625 Depth=2
	v_bfe_u32 v17, v47, 23, 8
	v_and_b32_e32 v56, 0x7fffff, v47
	v_sub_nc_u32_e32 v57, 0x78, v17
	v_cmp_gt_u32_e32 vcc_lo, 0x79, v17
	v_or_b32_e32 v58, 0x800000, v56
	v_cndmask_b32_e32 v57, 0, v57, vcc_lo
	v_cmp_eq_u32_e32 vcc_lo, 0, v17
	v_add_nc_u32_e32 v17, 0xffffff89, v17
	v_cndmask_b32_e64 v57, v57, 0x77, vcc_lo
	v_cndmask_b32_e32 v56, v58, v56, vcc_lo
	v_cndmask_b32_e64 v17, v17, 0xffffff8a, vcc_lo
	v_lshl_add_u32 v58, 0x100000, v57, -1
	v_lshrrev_b32_e32 v59, v57, v56
	v_lshlrev_b32_e64 v61, v57, 0x80000
	v_add_nc_u32_e32 v57, v57, v17
	v_and_b32_e32 v56, v58, v56
	v_bfe_u32 v60, v59, 20, 1
	v_cmp_eq_u32_e64 s10, v56, v61
	v_add_nc_u32_e32 v58, -1, v60
	v_cndmask_b32_e64 v56, 0, v58, s10
	v_lshrrev_b32_e32 v58, 23, v59
	s_mov_b32 s10, exec_lo
	v_add_nc_u32_e32 v56, v56, v59
	v_xor_b32_e32 v58, 1, v58
	v_and_b32_e32 v17, 0xfffff, v56
	v_add_nc_u32_e32 v56, v17, v59
                                        ; implicit-def: $vgpr17
	v_cmpx_ne_u32_e64 v57, v58
	s_xor_b32 s10, exec_lo, s10
; %bb.796:                              ;   in Loop: Header=BB4_625 Depth=2
	v_cmp_lt_u32_e32 vcc_lo, 0xffffff, v56
	v_sub_nc_u32_e32 v17, v57, v58
	v_cndmask_b32_e64 v57, 0, 1, vcc_lo
	v_add_co_ci_u32_e64 v17, null, 0, v17, vcc_lo
	v_lshrrev_b32_e32 v56, v57, v56
; %bb.797:                              ;   in Loop: Header=BB4_625 Depth=2
	s_andn2_saveexec_b32 s10, s10
; %bb.798:                              ;   in Loop: Header=BB4_625 Depth=2
	v_bfe_u32 v17, v56, 23, 1
; %bb.799:                              ;   in Loop: Header=BB4_625 Depth=2
	s_or_b32 exec_lo, exec_lo, s10
	v_lshrrev_b32_e32 v56, 20, v56
	v_min_i32_e32 v57, 15, v17
	v_cmp_gt_i32_e32 vcc_lo, 16, v17
	v_and_b32_sdwa v47, v47, v41 dst_sel:DWORD dst_unused:UNUSED_PAD src0_sel:BYTE_3 src1_sel:DWORD
	v_lshlrev_b32_e32 v57, 3, v57
	v_cndmask_b32_e32 v56, 7, v56, vcc_lo
	v_and_b32_e32 v57, 0xf8, v57
	v_and_b32_e32 v58, 7, v56
	v_or_b32_e32 v17, v17, v56
	v_or3_b32 v47, v47, v57, v58
	v_cmp_ne_u32_e32 vcc_lo, 0, v17
	v_lshlrev_b32_e32 v47, 8, v47
	v_cndmask_b32_e32 v17, 0, v47, vcc_lo
.LBB4_800:                              ;   in Loop: Header=BB4_625 Depth=2
	s_or_b32 exec_lo, exec_lo, s23
.LBB4_801:                              ;   in Loop: Header=BB4_625 Depth=2
	s_or_b32 exec_lo, exec_lo, s22
	v_cmp_gt_i16_sdwa s22, v19, v40 src0_sel:BYTE_0 src1_sel:DWORD
	s_mov_b32 s10, 0
	s_and_saveexec_b32 s23, s22
	s_xor_b32 s22, exec_lo, s23
	s_cbranch_execnz .LBB4_947
; %bb.802:                              ;   in Loop: Header=BB4_625 Depth=2
	s_or_saveexec_b32 s22, s22
	v_mov_b32_e32 v47, 0x7f800001
	s_xor_b32 exec_lo, exec_lo, s22
	s_cbranch_execnz .LBB4_950
.LBB4_803:                              ;   in Loop: Header=BB4_625 Depth=2
	s_or_b32 exec_lo, exec_lo, s22
	s_and_saveexec_b32 s22, s10
	s_cbranch_execz .LBB4_805
.LBB4_804:                              ;   in Loop: Header=BB4_625 Depth=2
	v_and_b32_e32 v47, 7, v19
	v_bfe_u32 v58, v19, 3, 4
	v_lshlrev_b32_e32 v59, 24, v19
	v_ffbh_u32_e32 v56, v47
	v_cmp_eq_u32_e32 vcc_lo, 0, v58
	v_min_u32_e32 v56, 32, v56
	v_subrev_nc_u32_e32 v57, 28, v56
	v_sub_nc_u32_e32 v56, 29, v56
	v_lshlrev_b32_e32 v57, v57, v19
	v_cndmask_b32_e32 v56, v58, v56, vcc_lo
	v_and_b32_e32 v57, 7, v57
	v_lshl_add_u32 v56, v56, 23, 0x3b800000
	v_cndmask_b32_e32 v47, v47, v57, vcc_lo
	v_and_b32_e32 v57, 0x80000000, v59
	v_lshlrev_b32_e32 v47, 20, v47
	v_or3_b32 v47, v57, v56, v47
.LBB4_805:                              ;   in Loop: Header=BB4_625 Depth=2
	s_or_b32 exec_lo, exec_lo, s22
	v_or_b32_e32 v97, v97, v54
	s_mov_b32 s10, 0
	v_cmp_gt_i16_sdwa s22, v97, v40 src0_sel:BYTE_0 src1_sel:DWORD
	s_and_saveexec_b32 s23, s22
	s_xor_b32 s22, exec_lo, s23
	s_cbranch_execnz .LBB4_951
; %bb.806:                              ;   in Loop: Header=BB4_625 Depth=2
	s_or_saveexec_b32 s22, s22
	v_mov_b32_e32 v54, 0x7f800001
	s_xor_b32 exec_lo, exec_lo, s22
	s_cbranch_execnz .LBB4_954
.LBB4_807:                              ;   in Loop: Header=BB4_625 Depth=2
	s_or_b32 exec_lo, exec_lo, s22
	s_and_saveexec_b32 s22, s10
	s_cbranch_execz .LBB4_809
.LBB4_808:                              ;   in Loop: Header=BB4_625 Depth=2
	v_and_b32_e32 v54, 7, v97
	v_bfe_u32 v58, v97, 3, 4
	v_lshlrev_b32_e32 v59, 24, v97
	v_ffbh_u32_e32 v56, v54
	v_cmp_eq_u32_e32 vcc_lo, 0, v58
	v_min_u32_e32 v56, 32, v56
	v_subrev_nc_u32_e32 v57, 28, v56
	v_sub_nc_u32_e32 v56, 29, v56
	v_lshlrev_b32_e32 v57, v57, v97
	v_cndmask_b32_e32 v56, v58, v56, vcc_lo
	v_and_b32_e32 v57, 7, v57
	v_lshl_add_u32 v56, v56, 23, 0x3b800000
	v_cndmask_b32_e32 v54, v54, v57, vcc_lo
	v_and_b32_e32 v57, 0x80000000, v59
	v_lshlrev_b32_e32 v54, 20, v54
	v_or3_b32 v54, v57, v56, v54
.LBB4_809:                              ;   in Loop: Header=BB4_625 Depth=2
	s_or_b32 exec_lo, exec_lo, s22
	v_add_f32_e32 v47, v47, v54
	v_and_b32_e32 v54, 0x7f800000, v47
	v_cmp_ne_u32_e32 vcc_lo, 0x7f800000, v54
	v_mov_b32_e32 v54, 0x80
	s_and_saveexec_b32 s22, vcc_lo
	s_cbranch_execz .LBB4_817
; %bb.810:                              ;   in Loop: Header=BB4_625 Depth=2
	v_mov_b32_e32 v54, 0
	s_mov_b32 s23, exec_lo
	v_cmpx_ne_u32_e32 0, v47
	s_cbranch_execz .LBB4_816
; %bb.811:                              ;   in Loop: Header=BB4_625 Depth=2
	v_bfe_u32 v54, v47, 23, 8
	v_and_b32_e32 v56, 0x7fffff, v47
	v_sub_nc_u32_e32 v57, 0x78, v54
	v_cmp_gt_u32_e32 vcc_lo, 0x79, v54
	v_or_b32_e32 v58, 0x800000, v56
	v_cndmask_b32_e32 v57, 0, v57, vcc_lo
	v_cmp_eq_u32_e32 vcc_lo, 0, v54
	v_add_nc_u32_e32 v54, 0xffffff89, v54
	v_cndmask_b32_e64 v57, v57, 0x77, vcc_lo
	v_cndmask_b32_e32 v56, v58, v56, vcc_lo
	v_cndmask_b32_e64 v54, v54, 0xffffff8a, vcc_lo
	v_lshl_add_u32 v58, 0x100000, v57, -1
	v_lshrrev_b32_e32 v59, v57, v56
	v_lshlrev_b32_e64 v61, v57, 0x80000
	v_add_nc_u32_e32 v57, v57, v54
	v_and_b32_e32 v56, v58, v56
	v_bfe_u32 v60, v59, 20, 1
	v_cmp_eq_u32_e64 s10, v56, v61
	v_add_nc_u32_e32 v58, -1, v60
	v_cndmask_b32_e64 v56, 0, v58, s10
	v_lshrrev_b32_e32 v58, 23, v59
	s_mov_b32 s10, exec_lo
	v_add_nc_u32_e32 v56, v56, v59
	v_xor_b32_e32 v58, 1, v58
	v_and_b32_e32 v54, 0xfffff, v56
	v_add_nc_u32_e32 v56, v54, v59
                                        ; implicit-def: $vgpr54
	v_cmpx_ne_u32_e64 v57, v58
	s_xor_b32 s10, exec_lo, s10
; %bb.812:                              ;   in Loop: Header=BB4_625 Depth=2
	v_cmp_lt_u32_e32 vcc_lo, 0xffffff, v56
	v_sub_nc_u32_e32 v54, v57, v58
	v_cndmask_b32_e64 v57, 0, 1, vcc_lo
	v_add_co_ci_u32_e64 v54, null, 0, v54, vcc_lo
	v_lshrrev_b32_e32 v56, v57, v56
; %bb.813:                              ;   in Loop: Header=BB4_625 Depth=2
	s_andn2_saveexec_b32 s10, s10
; %bb.814:                              ;   in Loop: Header=BB4_625 Depth=2
	v_bfe_u32 v54, v56, 23, 1
; %bb.815:                              ;   in Loop: Header=BB4_625 Depth=2
	s_or_b32 exec_lo, exec_lo, s10
	v_lshrrev_b32_e32 v56, 20, v56
	v_min_i32_e32 v57, 15, v54
	v_cmp_gt_i32_e32 vcc_lo, 16, v54
	v_and_b32_sdwa v47, v47, v41 dst_sel:DWORD dst_unused:UNUSED_PAD src0_sel:BYTE_3 src1_sel:DWORD
	v_lshlrev_b32_e32 v57, 3, v57
	v_cndmask_b32_e32 v56, 7, v56, vcc_lo
	v_and_b32_e32 v57, 0xf8, v57
	v_and_b32_e32 v58, 7, v56
	v_or_b32_e32 v54, v54, v56
	v_or3_b32 v47, v57, v47, v58
	v_cmp_ne_u32_e32 vcc_lo, 0, v54
	v_cndmask_b32_e32 v54, 0, v47, vcc_lo
.LBB4_816:                              ;   in Loop: Header=BB4_625 Depth=2
	s_or_b32 exec_lo, exec_lo, s23
.LBB4_817:                              ;   in Loop: Header=BB4_625 Depth=2
	s_or_b32 exec_lo, exec_lo, s22
	v_cmp_gt_i16_sdwa s22, v19, v40 src0_sel:BYTE_1 src1_sel:DWORD
	s_mov_b32 s10, 0
	s_and_saveexec_b32 s23, s22
	s_xor_b32 s22, exec_lo, s23
	s_cbranch_execnz .LBB4_955
; %bb.818:                              ;   in Loop: Header=BB4_625 Depth=2
	s_or_saveexec_b32 s22, s22
	v_mov_b32_e32 v47, 0x7f800001
	s_xor_b32 exec_lo, exec_lo, s22
	s_cbranch_execnz .LBB4_958
.LBB4_819:                              ;   in Loop: Header=BB4_625 Depth=2
	s_or_b32 exec_lo, exec_lo, s22
	s_and_saveexec_b32 s22, s10
	s_cbranch_execz .LBB4_821
.LBB4_820:                              ;   in Loop: Header=BB4_625 Depth=2
	v_and_b32_sdwa v47, v42, v19 dst_sel:DWORD dst_unused:UNUSED_PAD src0_sel:DWORD src1_sel:BYTE_1
	v_and_b32_e32 v56, 7, v47
	v_bfe_u32 v59, v47, 3, 4
	v_ffbh_u32_e32 v57, v56
	v_cmp_eq_u32_e32 vcc_lo, 0, v59
	v_min_u32_e32 v57, 32, v57
	v_subrev_nc_u32_e32 v58, 28, v57
	v_sub_nc_u32_e32 v57, 29, v57
	v_lshlrev_b32_e32 v47, v58, v47
	v_lshlrev_b32_sdwa v58, v43, v19 dst_sel:DWORD dst_unused:UNUSED_PAD src0_sel:DWORD src1_sel:BYTE_1
	v_cndmask_b32_e32 v57, v59, v57, vcc_lo
	v_and_b32_e32 v47, 7, v47
	v_lshl_add_u32 v57, v57, 23, 0x3b800000
	v_cndmask_b32_e32 v47, v56, v47, vcc_lo
	v_and_b32_e32 v56, 0x80000000, v58
	v_lshlrev_b32_e32 v47, 20, v47
	v_or3_b32 v47, v56, v57, v47
.LBB4_821:                              ;   in Loop: Header=BB4_625 Depth=2
	s_or_b32 exec_lo, exec_lo, s22
	v_cmp_gt_i16_sdwa s22, v97, v40 src0_sel:BYTE_1 src1_sel:DWORD
	s_mov_b32 s10, 0
	s_and_saveexec_b32 s23, s22
	s_xor_b32 s22, exec_lo, s23
	s_cbranch_execnz .LBB4_959
; %bb.822:                              ;   in Loop: Header=BB4_625 Depth=2
	s_or_saveexec_b32 s22, s22
	v_mov_b32_e32 v56, 0x7f800001
	s_xor_b32 exec_lo, exec_lo, s22
	s_cbranch_execnz .LBB4_962
.LBB4_823:                              ;   in Loop: Header=BB4_625 Depth=2
	s_or_b32 exec_lo, exec_lo, s22
	s_and_saveexec_b32 s22, s10
	s_cbranch_execz .LBB4_825
.LBB4_824:                              ;   in Loop: Header=BB4_625 Depth=2
	v_and_b32_sdwa v56, v42, v97 dst_sel:DWORD dst_unused:UNUSED_PAD src0_sel:DWORD src1_sel:BYTE_1
	v_and_b32_e32 v57, 7, v56
	v_bfe_u32 v60, v56, 3, 4
	v_ffbh_u32_e32 v58, v57
	v_cmp_eq_u32_e32 vcc_lo, 0, v60
	v_min_u32_e32 v58, 32, v58
	v_subrev_nc_u32_e32 v59, 28, v58
	v_sub_nc_u32_e32 v58, 29, v58
	v_lshlrev_b32_e32 v56, v59, v56
	v_lshlrev_b32_sdwa v59, v43, v97 dst_sel:DWORD dst_unused:UNUSED_PAD src0_sel:DWORD src1_sel:BYTE_1
	v_cndmask_b32_e32 v58, v60, v58, vcc_lo
	v_and_b32_e32 v56, 7, v56
	v_lshl_add_u32 v58, v58, 23, 0x3b800000
	v_cndmask_b32_e32 v56, v57, v56, vcc_lo
	v_and_b32_e32 v57, 0x80000000, v59
	v_lshlrev_b32_e32 v56, 20, v56
	v_or3_b32 v56, v57, v58, v56
.LBB4_825:                              ;   in Loop: Header=BB4_625 Depth=2
	s_or_b32 exec_lo, exec_lo, s22
	v_add_f32_e32 v56, v47, v56
	v_and_b32_e32 v47, 0x7f800000, v56
	v_cmp_ne_u32_e32 vcc_lo, 0x7f800000, v47
	v_mov_b32_e32 v47, 0x8000
	s_and_saveexec_b32 s22, vcc_lo
	s_cbranch_execz .LBB4_833
; %bb.826:                              ;   in Loop: Header=BB4_625 Depth=2
	v_mov_b32_e32 v47, 0
	s_mov_b32 s23, exec_lo
	v_cmpx_ne_u32_e32 0, v56
	s_cbranch_execz .LBB4_832
; %bb.827:                              ;   in Loop: Header=BB4_625 Depth=2
	v_bfe_u32 v47, v56, 23, 8
	v_and_b32_e32 v57, 0x7fffff, v56
	v_sub_nc_u32_e32 v58, 0x78, v47
	v_cmp_gt_u32_e32 vcc_lo, 0x79, v47
	v_or_b32_e32 v59, 0x800000, v57
	v_cndmask_b32_e32 v58, 0, v58, vcc_lo
	v_cmp_eq_u32_e32 vcc_lo, 0, v47
	v_add_nc_u32_e32 v47, 0xffffff89, v47
	v_cndmask_b32_e64 v58, v58, 0x77, vcc_lo
	v_cndmask_b32_e32 v57, v59, v57, vcc_lo
	v_cndmask_b32_e64 v47, v47, 0xffffff8a, vcc_lo
	v_lshl_add_u32 v59, 0x100000, v58, -1
	v_lshrrev_b32_e32 v60, v58, v57
	v_lshlrev_b32_e64 v62, v58, 0x80000
	v_add_nc_u32_e32 v58, v58, v47
	v_and_b32_e32 v57, v59, v57
	v_bfe_u32 v61, v60, 20, 1
	v_cmp_eq_u32_e64 s10, v57, v62
	v_add_nc_u32_e32 v59, -1, v61
	v_cndmask_b32_e64 v57, 0, v59, s10
	v_lshrrev_b32_e32 v59, 23, v60
	s_mov_b32 s10, exec_lo
	v_add_nc_u32_e32 v57, v57, v60
	v_xor_b32_e32 v59, 1, v59
	v_and_b32_e32 v47, 0xfffff, v57
	v_add_nc_u32_e32 v57, v47, v60
                                        ; implicit-def: $vgpr47
	v_cmpx_ne_u32_e64 v58, v59
	s_xor_b32 s10, exec_lo, s10
; %bb.828:                              ;   in Loop: Header=BB4_625 Depth=2
	v_cmp_lt_u32_e32 vcc_lo, 0xffffff, v57
	v_sub_nc_u32_e32 v47, v58, v59
	v_cndmask_b32_e64 v58, 0, 1, vcc_lo
	v_add_co_ci_u32_e64 v47, null, 0, v47, vcc_lo
	v_lshrrev_b32_e32 v57, v58, v57
; %bb.829:                              ;   in Loop: Header=BB4_625 Depth=2
	s_andn2_saveexec_b32 s10, s10
; %bb.830:                              ;   in Loop: Header=BB4_625 Depth=2
	v_bfe_u32 v47, v57, 23, 1
; %bb.831:                              ;   in Loop: Header=BB4_625 Depth=2
	s_or_b32 exec_lo, exec_lo, s10
	v_lshrrev_b32_e32 v57, 20, v57
	v_min_i32_e32 v58, 15, v47
	v_cmp_gt_i32_e32 vcc_lo, 16, v47
	v_and_b32_sdwa v56, v56, v41 dst_sel:DWORD dst_unused:UNUSED_PAD src0_sel:BYTE_3 src1_sel:DWORD
	v_lshlrev_b32_e32 v58, 3, v58
	v_cndmask_b32_e32 v57, 7, v57, vcc_lo
	v_and_b32_e32 v58, 0xf8, v58
	v_and_b32_e32 v59, 7, v57
	v_or_b32_e32 v47, v47, v57
	v_or3_b32 v56, v56, v58, v59
	v_cmp_ne_u32_e32 vcc_lo, 0, v47
	v_lshlrev_b32_e32 v56, 8, v56
	v_cndmask_b32_e32 v47, 0, v56, vcc_lo
.LBB4_832:                              ;   in Loop: Header=BB4_625 Depth=2
	s_or_b32 exec_lo, exec_lo, s23
.LBB4_833:                              ;   in Loop: Header=BB4_625 Depth=2
	s_or_b32 exec_lo, exec_lo, s22
	v_and_b32_sdwa v57, v19, v44 dst_sel:DWORD dst_unused:UNUSED_PAD src0_sel:WORD_1 src1_sel:DWORD
	s_mov_b32 s10, 0
	s_mov_b32 s22, exec_lo
	v_cmpx_lt_i16_e32 0x7f, v57
	s_xor_b32 s22, exec_lo, s22
	s_cbranch_execnz .LBB4_963
; %bb.834:                              ;   in Loop: Header=BB4_625 Depth=2
	s_or_saveexec_b32 s22, s22
	v_mov_b32_e32 v56, 0x7f800001
	s_xor_b32 exec_lo, exec_lo, s22
	s_cbranch_execnz .LBB4_966
.LBB4_835:                              ;   in Loop: Header=BB4_625 Depth=2
	s_or_b32 exec_lo, exec_lo, s22
	s_and_saveexec_b32 s22, s10
	s_cbranch_execz .LBB4_837
.LBB4_836:                              ;   in Loop: Header=BB4_625 Depth=2
	v_bfe_u32 v56, v19, 16, 3
	v_bfe_u32 v59, v19, 19, 4
	v_lshlrev_b32_e32 v60, 8, v19
	v_ffbh_u32_e32 v57, v56
	v_cmp_eq_u32_e32 vcc_lo, 0, v59
	v_min_u32_e32 v57, 32, v57
	v_subrev_nc_u32_e32 v58, 28, v57
	v_sub_nc_u32_e32 v57, 29, v57
	v_lshlrev_b32_sdwa v58, v58, v19 dst_sel:DWORD dst_unused:UNUSED_PAD src0_sel:DWORD src1_sel:WORD_1
	v_cndmask_b32_e32 v57, v59, v57, vcc_lo
	v_and_b32_e32 v58, 7, v58
	v_lshl_add_u32 v57, v57, 23, 0x3b800000
	v_cndmask_b32_e32 v56, v56, v58, vcc_lo
	v_and_b32_e32 v58, 0x80000000, v60
	v_lshlrev_b32_e32 v56, 20, v56
	v_or3_b32 v56, v58, v57, v56
.LBB4_837:                              ;   in Loop: Header=BB4_625 Depth=2
	s_or_b32 exec_lo, exec_lo, s22
	v_or_b32_e32 v18, v81, v18
	s_mov_b32 s10, 0
	v_cmp_gt_i16_sdwa s22, v18, v40 src0_sel:BYTE_0 src1_sel:DWORD
	s_and_saveexec_b32 s23, s22
	s_xor_b32 s22, exec_lo, s23
	s_cbranch_execnz .LBB4_967
; %bb.838:                              ;   in Loop: Header=BB4_625 Depth=2
	s_or_saveexec_b32 s22, s22
	v_mov_b32_e32 v57, 0x7f800001
	s_xor_b32 exec_lo, exec_lo, s22
	s_cbranch_execnz .LBB4_970
.LBB4_839:                              ;   in Loop: Header=BB4_625 Depth=2
	s_or_b32 exec_lo, exec_lo, s22
	v_lshl_or_b32 v81, v18, 16, v97
	s_and_saveexec_b32 s22, s10
	s_cbranch_execz .LBB4_841
.LBB4_840:                              ;   in Loop: Header=BB4_625 Depth=2
	v_bfe_u32 v18, v81, 16, 3
	v_bfe_u32 v58, v81, 19, 4
	v_lshlrev_b32_e32 v59, 8, v81
	v_ffbh_u32_e32 v97, v18
	v_cmp_eq_u32_e32 vcc_lo, 0, v58
	v_min_u32_e32 v97, 32, v97
	v_subrev_nc_u32_e32 v57, 28, v97
	v_sub_nc_u32_e32 v97, 29, v97
	v_lshlrev_b32_sdwa v57, v57, v81 dst_sel:DWORD dst_unused:UNUSED_PAD src0_sel:DWORD src1_sel:WORD_1
	v_cndmask_b32_e32 v97, v58, v97, vcc_lo
	v_and_b32_e32 v57, 7, v57
	v_lshl_add_u32 v97, v97, 23, 0x3b800000
	v_cndmask_b32_e32 v18, v18, v57, vcc_lo
	v_and_b32_e32 v57, 0x80000000, v59
	v_lshlrev_b32_e32 v18, 20, v18
	v_or3_b32 v57, v57, v97, v18
.LBB4_841:                              ;   in Loop: Header=BB4_625 Depth=2
	s_or_b32 exec_lo, exec_lo, s22
	v_add_f32_e32 v97, v56, v57
	v_and_b32_e32 v18, 0x7f800000, v97
	v_cmp_ne_u32_e32 vcc_lo, 0x7f800000, v18
	v_mov_b32_e32 v18, 0x80
	s_and_saveexec_b32 s22, vcc_lo
	s_cbranch_execz .LBB4_849
; %bb.842:                              ;   in Loop: Header=BB4_625 Depth=2
	v_mov_b32_e32 v18, 0
	s_mov_b32 s23, exec_lo
	v_cmpx_ne_u32_e32 0, v97
	s_cbranch_execz .LBB4_848
; %bb.843:                              ;   in Loop: Header=BB4_625 Depth=2
	v_bfe_u32 v18, v97, 23, 8
	v_and_b32_e32 v56, 0x7fffff, v97
	v_sub_nc_u32_e32 v57, 0x78, v18
	v_cmp_gt_u32_e32 vcc_lo, 0x79, v18
	v_or_b32_e32 v58, 0x800000, v56
	v_cndmask_b32_e32 v57, 0, v57, vcc_lo
	v_cmp_eq_u32_e32 vcc_lo, 0, v18
	v_add_nc_u32_e32 v18, 0xffffff89, v18
	v_cndmask_b32_e64 v57, v57, 0x77, vcc_lo
	v_cndmask_b32_e32 v56, v58, v56, vcc_lo
	v_cndmask_b32_e64 v18, v18, 0xffffff8a, vcc_lo
	v_lshl_add_u32 v58, 0x100000, v57, -1
	v_lshrrev_b32_e32 v59, v57, v56
	v_lshlrev_b32_e64 v61, v57, 0x80000
	v_add_nc_u32_e32 v57, v57, v18
	v_and_b32_e32 v56, v58, v56
	v_bfe_u32 v60, v59, 20, 1
	v_cmp_eq_u32_e64 s10, v56, v61
	v_add_nc_u32_e32 v58, -1, v60
	v_cndmask_b32_e64 v56, 0, v58, s10
	v_lshrrev_b32_e32 v58, 23, v59
	s_mov_b32 s10, exec_lo
	v_add_nc_u32_e32 v56, v56, v59
	v_xor_b32_e32 v58, 1, v58
	v_and_b32_e32 v18, 0xfffff, v56
	v_add_nc_u32_e32 v56, v18, v59
                                        ; implicit-def: $vgpr18
	v_cmpx_ne_u32_e64 v57, v58
	s_xor_b32 s10, exec_lo, s10
; %bb.844:                              ;   in Loop: Header=BB4_625 Depth=2
	v_cmp_lt_u32_e32 vcc_lo, 0xffffff, v56
	v_sub_nc_u32_e32 v18, v57, v58
	v_cndmask_b32_e64 v57, 0, 1, vcc_lo
	v_add_co_ci_u32_e64 v18, null, 0, v18, vcc_lo
	v_lshrrev_b32_e32 v56, v57, v56
; %bb.845:                              ;   in Loop: Header=BB4_625 Depth=2
	s_andn2_saveexec_b32 s10, s10
; %bb.846:                              ;   in Loop: Header=BB4_625 Depth=2
	v_bfe_u32 v18, v56, 23, 1
; %bb.847:                              ;   in Loop: Header=BB4_625 Depth=2
	s_or_b32 exec_lo, exec_lo, s10
	v_lshrrev_b32_e32 v56, 20, v56
	v_min_i32_e32 v57, 15, v18
	v_cmp_gt_i32_e32 vcc_lo, 16, v18
	v_and_b32_sdwa v97, v97, v41 dst_sel:DWORD dst_unused:UNUSED_PAD src0_sel:BYTE_3 src1_sel:DWORD
	v_lshlrev_b32_e32 v57, 3, v57
	v_cndmask_b32_e32 v56, 7, v56, vcc_lo
	v_and_b32_e32 v57, 0xf8, v57
	v_and_b32_e32 v58, 7, v56
	v_or_b32_e32 v18, v18, v56
	v_or3_b32 v97, v57, v97, v58
	v_cmp_ne_u32_e32 vcc_lo, 0, v18
	v_cndmask_b32_e32 v18, 0, v97, vcc_lo
.LBB4_848:                              ;   in Loop: Header=BB4_625 Depth=2
	s_or_b32 exec_lo, exec_lo, s23
.LBB4_849:                              ;   in Loop: Header=BB4_625 Depth=2
	s_or_b32 exec_lo, exec_lo, s22
	v_cmp_gt_i16_sdwa s22, v19, v40 src0_sel:BYTE_3 src1_sel:DWORD
	s_mov_b32 s10, 0
	s_and_saveexec_b32 s23, s22
	s_xor_b32 s22, exec_lo, s23
	s_cbranch_execnz .LBB4_971
; %bb.850:                              ;   in Loop: Header=BB4_625 Depth=2
	s_or_saveexec_b32 s22, s22
	v_mov_b32_e32 v97, 0x7f800001
	s_xor_b32 exec_lo, exec_lo, s22
	s_cbranch_execnz .LBB4_974
.LBB4_851:                              ;   in Loop: Header=BB4_625 Depth=2
	s_or_b32 exec_lo, exec_lo, s22
	s_and_saveexec_b32 s22, s10
	s_cbranch_execz .LBB4_853
.LBB4_852:                              ;   in Loop: Header=BB4_625 Depth=2
	v_bfe_u32 v97, v19, 24, 3
	v_bfe_u32 v58, v19, 27, 4
	v_ffbh_u32_e32 v56, v97
	v_cmp_eq_u32_e32 vcc_lo, 0, v58
	v_min_u32_e32 v56, 32, v56
	v_subrev_nc_u32_e32 v57, 28, v56
	v_sub_nc_u32_e32 v56, 29, v56
	v_lshlrev_b32_sdwa v57, v57, v19 dst_sel:DWORD dst_unused:UNUSED_PAD src0_sel:DWORD src1_sel:BYTE_3
	v_cndmask_b32_e32 v56, v58, v56, vcc_lo
	v_and_b32_e32 v19, 0x80000000, v19
	v_and_b32_e32 v57, 7, v57
	v_lshl_add_u32 v56, v56, 23, 0x3b800000
	v_cndmask_b32_e32 v97, v97, v57, vcc_lo
	v_lshlrev_b32_e32 v97, 20, v97
	v_or3_b32 v97, v19, v56, v97
.LBB4_853:                              ;   in Loop: Header=BB4_625 Depth=2
	s_or_b32 exec_lo, exec_lo, s22
	v_cmp_gt_i16_sdwa s22, v81, v40 src0_sel:BYTE_3 src1_sel:DWORD
	s_mov_b32 s10, 0
	s_and_saveexec_b32 s23, s22
	s_xor_b32 s22, exec_lo, s23
	s_cbranch_execnz .LBB4_975
; %bb.854:                              ;   in Loop: Header=BB4_625 Depth=2
	s_or_saveexec_b32 s22, s22
	v_mov_b32_e32 v19, 0x7f800001
	s_xor_b32 exec_lo, exec_lo, s22
	s_cbranch_execnz .LBB4_978
.LBB4_855:                              ;   in Loop: Header=BB4_625 Depth=2
	s_or_b32 exec_lo, exec_lo, s22
	s_and_saveexec_b32 s22, s10
	s_cbranch_execz .LBB4_857
.LBB4_856:                              ;   in Loop: Header=BB4_625 Depth=2
	v_bfe_u32 v19, v81, 24, 3
	v_bfe_u32 v58, v81, 27, 4
	v_ffbh_u32_e32 v56, v19
	v_cmp_eq_u32_e32 vcc_lo, 0, v58
	v_min_u32_e32 v56, 32, v56
	v_subrev_nc_u32_e32 v57, 28, v56
	v_sub_nc_u32_e32 v56, 29, v56
	v_lshlrev_b32_sdwa v57, v57, v81 dst_sel:DWORD dst_unused:UNUSED_PAD src0_sel:DWORD src1_sel:BYTE_3
	v_cndmask_b32_e32 v56, v58, v56, vcc_lo
	v_and_b32_e32 v81, 0x80000000, v81
	v_and_b32_e32 v57, 7, v57
	v_lshl_add_u32 v56, v56, 23, 0x3b800000
	v_cndmask_b32_e32 v19, v19, v57, vcc_lo
	v_lshlrev_b32_e32 v19, 20, v19
	v_or3_b32 v19, v81, v56, v19
.LBB4_857:                              ;   in Loop: Header=BB4_625 Depth=2
	s_or_b32 exec_lo, exec_lo, s22
	v_add_f32_e32 v19, v97, v19
	v_and_b32_e32 v81, 0x7f800000, v19
	v_cmp_ne_u32_e32 vcc_lo, 0x7f800000, v81
	v_mov_b32_e32 v81, 0x8000
	s_and_saveexec_b32 s22, vcc_lo
	s_cbranch_execz .LBB4_865
; %bb.858:                              ;   in Loop: Header=BB4_625 Depth=2
	v_mov_b32_e32 v81, 0
	s_mov_b32 s23, exec_lo
	v_cmpx_ne_u32_e32 0, v19
	s_cbranch_execz .LBB4_864
; %bb.859:                              ;   in Loop: Header=BB4_625 Depth=2
	v_bfe_u32 v81, v19, 23, 8
	v_and_b32_e32 v97, 0x7fffff, v19
	v_sub_nc_u32_e32 v56, 0x78, v81
	v_cmp_gt_u32_e32 vcc_lo, 0x79, v81
	v_or_b32_e32 v57, 0x800000, v97
	v_cndmask_b32_e32 v56, 0, v56, vcc_lo
	v_cmp_eq_u32_e32 vcc_lo, 0, v81
	v_add_nc_u32_e32 v81, 0xffffff89, v81
	v_cndmask_b32_e64 v56, v56, 0x77, vcc_lo
	v_cndmask_b32_e32 v97, v57, v97, vcc_lo
	v_cndmask_b32_e64 v81, v81, 0xffffff8a, vcc_lo
	v_lshl_add_u32 v57, 0x100000, v56, -1
	v_lshrrev_b32_e32 v58, v56, v97
	v_lshlrev_b32_e64 v60, v56, 0x80000
	v_add_nc_u32_e32 v56, v56, v81
	v_and_b32_e32 v97, v57, v97
	v_bfe_u32 v59, v58, 20, 1
	v_cmp_eq_u32_e64 s10, v97, v60
	v_add_nc_u32_e32 v57, -1, v59
	v_cndmask_b32_e64 v97, 0, v57, s10
	v_lshrrev_b32_e32 v57, 23, v58
	s_mov_b32 s10, exec_lo
	v_add_nc_u32_e32 v97, v97, v58
	v_xor_b32_e32 v57, 1, v57
	v_and_b32_e32 v81, 0xfffff, v97
	v_add_nc_u32_e32 v97, v81, v58
                                        ; implicit-def: $vgpr81
	v_cmpx_ne_u32_e64 v56, v57
	s_xor_b32 s10, exec_lo, s10
; %bb.860:                              ;   in Loop: Header=BB4_625 Depth=2
	v_cmp_lt_u32_e32 vcc_lo, 0xffffff, v97
	v_sub_nc_u32_e32 v81, v56, v57
	v_cndmask_b32_e64 v56, 0, 1, vcc_lo
	v_add_co_ci_u32_e64 v81, null, 0, v81, vcc_lo
	v_lshrrev_b32_e32 v97, v56, v97
; %bb.861:                              ;   in Loop: Header=BB4_625 Depth=2
	s_andn2_saveexec_b32 s10, s10
; %bb.862:                              ;   in Loop: Header=BB4_625 Depth=2
	v_bfe_u32 v81, v97, 23, 1
; %bb.863:                              ;   in Loop: Header=BB4_625 Depth=2
	s_or_b32 exec_lo, exec_lo, s10
	v_lshrrev_b32_e32 v97, 20, v97
	v_min_i32_e32 v56, 15, v81
	v_cmp_gt_i32_e32 vcc_lo, 16, v81
	v_and_b32_sdwa v19, v19, v41 dst_sel:DWORD dst_unused:UNUSED_PAD src0_sel:BYTE_3 src1_sel:DWORD
	v_lshlrev_b32_e32 v56, 3, v56
	v_cndmask_b32_e32 v97, 7, v97, vcc_lo
	v_and_b32_e32 v56, 0xf8, v56
	v_and_b32_e32 v57, 7, v97
	v_or_b32_e32 v81, v81, v97
	v_or3_b32 v19, v19, v56, v57
	v_cmp_ne_u32_e32 vcc_lo, 0, v81
	v_lshlrev_b32_e32 v19, 8, v19
	v_cndmask_b32_e32 v81, 0, v19, vcc_lo
.LBB4_864:                              ;   in Loop: Header=BB4_625 Depth=2
	s_or_b32 exec_lo, exec_lo, s23
.LBB4_865:                              ;   in Loop: Header=BB4_625 Depth=2
	s_or_b32 exec_lo, exec_lo, s22
	v_or_b32_e32 v20, v82, v20
	v_or_b32_e32 v17, v17, v96
	;; [unrolled: 1-line block ×4, first 2 shown]
	v_cmp_lt_u32_e32 vcc_lo, 7, v46
	s_mov_b32 s10, -1
	v_lshl_or_b32 v17, v17, 16, v20
	v_lshl_or_b32 v18, v18, 16, v19
	s_cmp_lg_u32 vcc_lo, exec_lo
	s_cbranch_scc0 .LBB4_881
; %bb.866:                              ;   in Loop: Header=BB4_625 Depth=2
	s_mov_b32 s22, exec_lo
	flat_store_byte v[70:71], v20
	v_cmpx_ne_u32_e32 1, v46
	s_cbranch_execz .LBB4_868
; %bb.867:                              ;   in Loop: Header=BB4_625 Depth=2
	v_lshrrev_b32_e32 v20, 8, v20
	flat_store_byte v[70:71], v20 offset:1
.LBB4_868:                              ;   in Loop: Header=BB4_625 Depth=2
	s_or_b32 exec_lo, exec_lo, s22
	s_mov_b32 s22, exec_lo
	v_cmpx_lt_u32_e32 2, v46
	s_cbranch_execz .LBB4_870
; %bb.869:                              ;   in Loop: Header=BB4_625 Depth=2
	flat_store_byte_d16_hi v[70:71], v17 offset:2
.LBB4_870:                              ;   in Loop: Header=BB4_625 Depth=2
	s_or_b32 exec_lo, exec_lo, s22
	s_mov_b32 s22, exec_lo
	v_cmpx_lt_u32_e32 3, v46
	s_cbranch_execz .LBB4_872
; %bb.871:                              ;   in Loop: Header=BB4_625 Depth=2
	v_lshrrev_b32_e32 v20, 24, v17
	flat_store_byte v[70:71], v20 offset:3
.LBB4_872:                              ;   in Loop: Header=BB4_625 Depth=2
	s_or_b32 exec_lo, exec_lo, s22
	s_mov_b32 s22, exec_lo
	v_cmpx_lt_u32_e32 4, v46
	s_cbranch_execz .LBB4_874
; %bb.873:                              ;   in Loop: Header=BB4_625 Depth=2
	flat_store_byte v[70:71], v19 offset:4
.LBB4_874:                              ;   in Loop: Header=BB4_625 Depth=2
	s_or_b32 exec_lo, exec_lo, s22
	s_mov_b32 s22, exec_lo
	v_cmpx_lt_u32_e32 5, v46
	s_cbranch_execz .LBB4_876
; %bb.875:                              ;   in Loop: Header=BB4_625 Depth=2
	v_lshrrev_b32_e32 v19, 8, v19
	flat_store_byte v[70:71], v19 offset:5
.LBB4_876:                              ;   in Loop: Header=BB4_625 Depth=2
	s_or_b32 exec_lo, exec_lo, s22
	s_mov_b32 s22, exec_lo
	v_cmpx_lt_u32_e32 6, v46
	s_cbranch_execz .LBB4_878
; %bb.877:                              ;   in Loop: Header=BB4_625 Depth=2
	flat_store_byte_d16_hi v[70:71], v18 offset:6
.LBB4_878:                              ;   in Loop: Header=BB4_625 Depth=2
	s_or_b32 exec_lo, exec_lo, s22
	s_and_saveexec_b32 s10, vcc_lo
	s_cbranch_execz .LBB4_880
; %bb.879:                              ;   in Loop: Header=BB4_625 Depth=2
	v_lshrrev_b32_e32 v19, 24, v18
	flat_store_byte v[70:71], v19 offset:7
.LBB4_880:                              ;   in Loop: Header=BB4_625 Depth=2
	s_or_b32 exec_lo, exec_lo, s10
	s_mov_b32 s10, 0
.LBB4_881:                              ;   in Loop: Header=BB4_625 Depth=2
	s_and_b32 vcc_lo, exec_lo, s10
	s_cbranch_vccz .LBB4_624
; %bb.882:                              ;   in Loop: Header=BB4_625 Depth=2
	global_store_dwordx2 v[70:71], v[17:18], off
	s_branch .LBB4_624
.LBB4_883:                              ;   in Loop: Header=BB4_625 Depth=2
	v_cmp_eq_u16_sdwa s24, v54, v41 src0_sel:BYTE_0 src1_sel:DWORD
	s_mov_b32 s10, -1
	s_and_saveexec_b32 s23, s24
; %bb.884:                              ;   in Loop: Header=BB4_625 Depth=2
	s_xor_b32 s10, exec_lo, -1
; %bb.885:                              ;   in Loop: Header=BB4_625 Depth=2
	s_or_b32 exec_lo, exec_lo, s23
	s_and_b32 s10, s10, exec_lo
	s_or_saveexec_b32 s22, s22
	v_mov_b32_e32 v20, 0x7f800001
	s_xor_b32 exec_lo, exec_lo, s22
	s_cbranch_execz .LBB4_643
.LBB4_886:                              ;   in Loop: Header=BB4_625 Depth=2
	v_cmp_ne_u16_sdwa s23, v54, v55 src0_sel:BYTE_0 src1_sel:DWORD
	v_mov_b32_e32 v20, 0
	s_andn2_b32 s10, s10, exec_lo
	s_and_b32 s23, s23, exec_lo
	s_or_b32 s10, s10, s23
	s_or_b32 exec_lo, exec_lo, s22
	s_and_saveexec_b32 s22, s10
	s_cbranch_execnz .LBB4_644
	s_branch .LBB4_645
.LBB4_887:                              ;   in Loop: Header=BB4_625 Depth=2
	v_cmp_eq_u16_sdwa s24, v54, v41 src0_sel:BYTE_1 src1_sel:DWORD
	s_mov_b32 s10, -1
	s_and_saveexec_b32 s23, s24
; %bb.888:                              ;   in Loop: Header=BB4_625 Depth=2
	s_xor_b32 s10, exec_lo, -1
; %bb.889:                              ;   in Loop: Header=BB4_625 Depth=2
	s_or_b32 exec_lo, exec_lo, s23
	s_and_b32 s10, s10, exec_lo
	s_or_saveexec_b32 s22, s22
	v_mov_b32_e32 v81, 0x7f800001
	s_xor_b32 exec_lo, exec_lo, s22
	s_cbranch_execz .LBB4_655
.LBB4_890:                              ;   in Loop: Header=BB4_625 Depth=2
	v_cmp_ne_u16_sdwa s23, v54, v55 src0_sel:BYTE_1 src1_sel:DWORD
	v_mov_b32_e32 v81, 0
	s_andn2_b32 s10, s10, exec_lo
	s_and_b32 s23, s23, exec_lo
	s_or_b32 s10, s10, s23
	s_or_b32 exec_lo, exec_lo, s22
	s_and_saveexec_b32 s22, s10
	s_cbranch_execnz .LBB4_656
	s_branch .LBB4_657
.LBB4_891:                              ;   in Loop: Header=BB4_625 Depth=2
	s_mov_b32 s10, -1
	s_mov_b32 s23, exec_lo
	v_cmpx_eq_u16_e32 0x80, v96
; %bb.892:                              ;   in Loop: Header=BB4_625 Depth=2
	s_xor_b32 s10, exec_lo, -1
; %bb.893:                              ;   in Loop: Header=BB4_625 Depth=2
	s_or_b32 exec_lo, exec_lo, s23
	s_and_b32 s10, s10, exec_lo
                                        ; implicit-def: $vgpr96
	s_or_saveexec_b32 s22, s22
	v_mov_b32_e32 v81, 0x7f800001
	s_xor_b32 exec_lo, exec_lo, s22
	s_cbranch_execz .LBB4_667
.LBB4_894:                              ;   in Loop: Header=BB4_625 Depth=2
	v_cmp_ne_u16_e32 vcc_lo, 0, v96
	v_mov_b32_e32 v81, 0
	s_andn2_b32 s10, s10, exec_lo
	s_and_b32 s23, vcc_lo, exec_lo
	s_or_b32 s10, s10, s23
	s_or_b32 exec_lo, exec_lo, s22
	s_and_saveexec_b32 s22, s10
	s_cbranch_execnz .LBB4_668
	s_branch .LBB4_669
.LBB4_895:                              ;   in Loop: Header=BB4_625 Depth=2
	v_cmp_eq_u16_sdwa s24, v54, v41 src0_sel:BYTE_3 src1_sel:DWORD
	s_mov_b32 s10, -1
	s_and_saveexec_b32 s23, s24
; %bb.896:                              ;   in Loop: Header=BB4_625 Depth=2
	s_xor_b32 s10, exec_lo, -1
; %bb.897:                              ;   in Loop: Header=BB4_625 Depth=2
	s_or_b32 exec_lo, exec_lo, s23
	s_and_b32 s10, s10, exec_lo
	s_or_saveexec_b32 s22, s22
	v_mov_b32_e32 v81, 0x7f800001
	s_xor_b32 exec_lo, exec_lo, s22
	s_cbranch_execz .LBB4_679
.LBB4_898:                              ;   in Loop: Header=BB4_625 Depth=2
	v_cmp_ne_u16_sdwa s23, v54, v55 src0_sel:BYTE_3 src1_sel:DWORD
	v_mov_b32_e32 v81, 0
	s_andn2_b32 s10, s10, exec_lo
	s_and_b32 s23, s23, exec_lo
	s_or_b32 s10, s10, s23
	s_or_b32 exec_lo, exec_lo, s22
	s_and_saveexec_b32 s22, s10
	s_cbranch_execnz .LBB4_680
	s_branch .LBB4_681
.LBB4_899:                              ;   in Loop: Header=BB4_625 Depth=2
	v_cmp_eq_u16_sdwa s24, v81, v41 src0_sel:BYTE_0 src1_sel:DWORD
	s_mov_b32 s10, -1
	s_and_saveexec_b32 s23, s24
; %bb.900:                              ;   in Loop: Header=BB4_625 Depth=2
	s_xor_b32 s10, exec_lo, -1
; %bb.901:                              ;   in Loop: Header=BB4_625 Depth=2
	s_or_b32 exec_lo, exec_lo, s23
	s_and_b32 s10, s10, exec_lo
	s_or_saveexec_b32 s22, s22
	v_mov_b32_e32 v18, 0x7f800001
	s_xor_b32 exec_lo, exec_lo, s22
	s_cbranch_execz .LBB4_691
.LBB4_902:                              ;   in Loop: Header=BB4_625 Depth=2
	v_cmp_ne_u16_sdwa s23, v81, v55 src0_sel:BYTE_0 src1_sel:DWORD
	v_mov_b32_e32 v18, 0
	s_andn2_b32 s10, s10, exec_lo
	s_and_b32 s23, s23, exec_lo
	s_or_b32 s10, s10, s23
	s_or_b32 exec_lo, exec_lo, s22
	s_and_saveexec_b32 s22, s10
	s_cbranch_execnz .LBB4_692
	s_branch .LBB4_693
.LBB4_903:                              ;   in Loop: Header=BB4_625 Depth=2
	v_cmp_eq_u16_sdwa s24, v81, v41 src0_sel:BYTE_1 src1_sel:DWORD
	s_mov_b32 s10, -1
	s_and_saveexec_b32 s23, s24
; %bb.904:                              ;   in Loop: Header=BB4_625 Depth=2
	s_xor_b32 s10, exec_lo, -1
; %bb.905:                              ;   in Loop: Header=BB4_625 Depth=2
	s_or_b32 exec_lo, exec_lo, s23
	s_and_b32 s10, s10, exec_lo
	s_or_saveexec_b32 s22, s22
	v_mov_b32_e32 v18, 0x7f800001
	s_xor_b32 exec_lo, exec_lo, s22
	s_cbranch_execz .LBB4_703
.LBB4_906:                              ;   in Loop: Header=BB4_625 Depth=2
	v_cmp_ne_u16_sdwa s23, v81, v55 src0_sel:BYTE_1 src1_sel:DWORD
	v_mov_b32_e32 v18, 0
	s_andn2_b32 s10, s10, exec_lo
	s_and_b32 s23, s23, exec_lo
	s_or_b32 s10, s10, s23
	s_or_b32 exec_lo, exec_lo, s22
	s_and_saveexec_b32 s22, s10
	s_cbranch_execnz .LBB4_704
	s_branch .LBB4_705
.LBB4_907:                              ;   in Loop: Header=BB4_625 Depth=2
	s_mov_b32 s10, -1
	s_mov_b32 s23, exec_lo
	v_cmpx_eq_u16_e32 0x80, v56
; %bb.908:                              ;   in Loop: Header=BB4_625 Depth=2
	s_xor_b32 s10, exec_lo, -1
; %bb.909:                              ;   in Loop: Header=BB4_625 Depth=2
	s_or_b32 exec_lo, exec_lo, s23
	s_and_b32 s10, s10, exec_lo
                                        ; implicit-def: $vgpr56
	s_or_saveexec_b32 s22, s22
	v_mov_b32_e32 v18, 0x7f800001
	s_xor_b32 exec_lo, exec_lo, s22
	s_cbranch_execz .LBB4_715
.LBB4_910:                              ;   in Loop: Header=BB4_625 Depth=2
	v_cmp_ne_u16_e32 vcc_lo, 0, v56
	v_mov_b32_e32 v18, 0
	s_andn2_b32 s10, s10, exec_lo
	s_and_b32 s23, vcc_lo, exec_lo
	s_or_b32 s10, s10, s23
	s_or_b32 exec_lo, exec_lo, s22
	s_and_saveexec_b32 s22, s10
	s_cbranch_execnz .LBB4_716
	s_branch .LBB4_717
.LBB4_911:                              ;   in Loop: Header=BB4_625 Depth=2
	v_cmp_eq_u16_sdwa s24, v81, v41 src0_sel:BYTE_3 src1_sel:DWORD
	s_mov_b32 s10, -1
	s_and_saveexec_b32 s23, s24
; %bb.912:                              ;   in Loop: Header=BB4_625 Depth=2
	s_xor_b32 s10, exec_lo, -1
; %bb.913:                              ;   in Loop: Header=BB4_625 Depth=2
	s_or_b32 exec_lo, exec_lo, s23
	s_and_b32 s10, s10, exec_lo
	s_or_saveexec_b32 s22, s22
	v_mov_b32_e32 v56, 0x7f800001
	s_xor_b32 exec_lo, exec_lo, s22
	s_cbranch_execz .LBB4_727
.LBB4_914:                              ;   in Loop: Header=BB4_625 Depth=2
	v_cmp_ne_u16_sdwa s23, v81, v55 src0_sel:BYTE_3 src1_sel:DWORD
	v_mov_b32_e32 v56, 0
	s_andn2_b32 s10, s10, exec_lo
	s_and_b32 s23, s23, exec_lo
	s_or_b32 s10, s10, s23
	s_or_b32 exec_lo, exec_lo, s22
	s_and_saveexec_b32 s22, s10
	s_cbranch_execnz .LBB4_728
	s_branch .LBB4_729
.LBB4_915:                              ;   in Loop: Header=BB4_625 Depth=2
	v_cmp_eq_u16_sdwa s24, v17, v41 src0_sel:BYTE_0 src1_sel:DWORD
	s_mov_b32 s10, -1
	s_and_saveexec_b32 s23, s24
; %bb.916:                              ;   in Loop: Header=BB4_625 Depth=2
	s_xor_b32 s10, exec_lo, -1
; %bb.917:                              ;   in Loop: Header=BB4_625 Depth=2
	s_or_b32 exec_lo, exec_lo, s23
	s_and_b32 s10, s10, exec_lo
	s_or_saveexec_b32 s22, s22
	v_mov_b32_e32 v57, 0x7f800001
	s_xor_b32 exec_lo, exec_lo, s22
	s_cbranch_execz .LBB4_739
.LBB4_918:                              ;   in Loop: Header=BB4_625 Depth=2
	v_cmp_ne_u16_sdwa s23, v17, v55 src0_sel:BYTE_0 src1_sel:DWORD
	v_mov_b32_e32 v57, 0
	s_andn2_b32 s10, s10, exec_lo
	s_and_b32 s23, s23, exec_lo
	s_or_b32 s10, s10, s23
	s_or_b32 exec_lo, exec_lo, s22
	s_and_saveexec_b32 s22, s10
	s_cbranch_execnz .LBB4_740
	s_branch .LBB4_741
.LBB4_919:                              ;   in Loop: Header=BB4_625 Depth=2
	v_cmp_eq_u16_sdwa s24, v56, v41 src0_sel:BYTE_0 src1_sel:DWORD
	s_mov_b32 s10, -1
	s_and_saveexec_b32 s23, s24
; %bb.920:                              ;   in Loop: Header=BB4_625 Depth=2
	s_xor_b32 s10, exec_lo, -1
; %bb.921:                              ;   in Loop: Header=BB4_625 Depth=2
	s_or_b32 exec_lo, exec_lo, s23
	s_and_b32 s10, s10, exec_lo
	s_or_saveexec_b32 s22, s22
	v_mov_b32_e32 v20, 0x7f800001
	s_xor_b32 exec_lo, exec_lo, s22
	s_cbranch_execz .LBB4_743
.LBB4_922:                              ;   in Loop: Header=BB4_625 Depth=2
	v_cmp_ne_u16_sdwa s23, v56, v55 src0_sel:BYTE_0 src1_sel:DWORD
	v_mov_b32_e32 v20, 0
	s_andn2_b32 s10, s10, exec_lo
	s_and_b32 s23, s23, exec_lo
	s_or_b32 s10, s10, s23
	s_or_b32 exec_lo, exec_lo, s22
	s_and_saveexec_b32 s22, s10
	s_cbranch_execnz .LBB4_744
	s_branch .LBB4_745
.LBB4_923:                              ;   in Loop: Header=BB4_625 Depth=2
	v_cmp_eq_u16_sdwa s24, v17, v41 src0_sel:BYTE_1 src1_sel:DWORD
	s_mov_b32 s10, -1
	s_and_saveexec_b32 s23, s24
; %bb.924:                              ;   in Loop: Header=BB4_625 Depth=2
	s_xor_b32 s10, exec_lo, -1
; %bb.925:                              ;   in Loop: Header=BB4_625 Depth=2
	s_or_b32 exec_lo, exec_lo, s23
	s_and_b32 s10, s10, exec_lo
	s_or_saveexec_b32 s22, s22
	v_mov_b32_e32 v82, 0x7f800001
	s_xor_b32 exec_lo, exec_lo, s22
	s_cbranch_execz .LBB4_755
.LBB4_926:                              ;   in Loop: Header=BB4_625 Depth=2
	v_cmp_ne_u16_sdwa s23, v17, v55 src0_sel:BYTE_1 src1_sel:DWORD
	v_mov_b32_e32 v82, 0
	s_andn2_b32 s10, s10, exec_lo
	s_and_b32 s23, s23, exec_lo
	s_or_b32 s10, s10, s23
	s_or_b32 exec_lo, exec_lo, s22
	s_and_saveexec_b32 s22, s10
	s_cbranch_execnz .LBB4_756
	s_branch .LBB4_757
.LBB4_927:                              ;   in Loop: Header=BB4_625 Depth=2
	v_cmp_eq_u16_sdwa s24, v56, v41 src0_sel:BYTE_1 src1_sel:DWORD
	s_mov_b32 s10, -1
	s_and_saveexec_b32 s23, s24
; %bb.928:                              ;   in Loop: Header=BB4_625 Depth=2
	s_xor_b32 s10, exec_lo, -1
; %bb.929:                              ;   in Loop: Header=BB4_625 Depth=2
	s_or_b32 exec_lo, exec_lo, s23
	s_and_b32 s10, s10, exec_lo
	s_or_saveexec_b32 s22, s22
	v_mov_b32_e32 v57, 0x7f800001
	s_xor_b32 exec_lo, exec_lo, s22
	s_cbranch_execz .LBB4_759
.LBB4_930:                              ;   in Loop: Header=BB4_625 Depth=2
	v_cmp_ne_u16_sdwa s23, v56, v55 src0_sel:BYTE_1 src1_sel:DWORD
	v_mov_b32_e32 v57, 0
	s_andn2_b32 s10, s10, exec_lo
	s_and_b32 s23, s23, exec_lo
	s_or_b32 s10, s10, s23
	s_or_b32 exec_lo, exec_lo, s22
	s_and_saveexec_b32 s22, s10
	s_cbranch_execnz .LBB4_760
	s_branch .LBB4_761
.LBB4_931:                              ;   in Loop: Header=BB4_625 Depth=2
	s_mov_b32 s10, -1
	s_mov_b32 s23, exec_lo
	v_cmpx_eq_u16_e32 0x80, v58
; %bb.932:                              ;   in Loop: Header=BB4_625 Depth=2
	s_xor_b32 s10, exec_lo, -1
; %bb.933:                              ;   in Loop: Header=BB4_625 Depth=2
	s_or_b32 exec_lo, exec_lo, s23
	s_and_b32 s10, s10, exec_lo
                                        ; implicit-def: $vgpr58
	s_or_saveexec_b32 s22, s22
	v_mov_b32_e32 v57, 0x7f800001
	s_xor_b32 exec_lo, exec_lo, s22
	s_cbranch_execz .LBB4_771
.LBB4_934:                              ;   in Loop: Header=BB4_625 Depth=2
	v_cmp_ne_u16_e32 vcc_lo, 0, v58
	v_mov_b32_e32 v57, 0
	s_andn2_b32 s10, s10, exec_lo
	s_and_b32 s23, vcc_lo, exec_lo
	s_or_b32 s10, s10, s23
	s_or_b32 exec_lo, exec_lo, s22
	s_and_saveexec_b32 s22, s10
	s_cbranch_execnz .LBB4_772
	s_branch .LBB4_773
.LBB4_935:                              ;   in Loop: Header=BB4_625 Depth=2
	v_cmp_eq_u16_sdwa s24, v96, v41 src0_sel:BYTE_0 src1_sel:DWORD
	s_mov_b32 s10, -1
	s_and_saveexec_b32 s23, s24
; %bb.936:                              ;   in Loop: Header=BB4_625 Depth=2
	s_xor_b32 s10, exec_lo, -1
; %bb.937:                              ;   in Loop: Header=BB4_625 Depth=2
	s_or_b32 exec_lo, exec_lo, s23
	s_and_b32 s10, s10, exec_lo
	s_or_saveexec_b32 s22, s22
	v_mov_b32_e32 v58, 0x7f800001
	s_xor_b32 exec_lo, exec_lo, s22
	s_cbranch_execz .LBB4_775
.LBB4_938:                              ;   in Loop: Header=BB4_625 Depth=2
	v_cmp_ne_u16_sdwa s23, v96, v55 src0_sel:BYTE_0 src1_sel:DWORD
	v_mov_b32_e32 v58, 0
	s_andn2_b32 s10, s10, exec_lo
	s_and_b32 s23, s23, exec_lo
	s_or_b32 s10, s10, s23
	s_or_b32 exec_lo, exec_lo, s22
	v_lshl_or_b32 v47, v96, 16, v56
	s_and_saveexec_b32 s22, s10
	s_cbranch_execnz .LBB4_776
	s_branch .LBB4_777
.LBB4_939:                              ;   in Loop: Header=BB4_625 Depth=2
	v_cmp_eq_u16_sdwa s24, v17, v41 src0_sel:BYTE_3 src1_sel:DWORD
	s_mov_b32 s10, -1
	s_and_saveexec_b32 s23, s24
; %bb.940:                              ;   in Loop: Header=BB4_625 Depth=2
	s_xor_b32 s10, exec_lo, -1
; %bb.941:                              ;   in Loop: Header=BB4_625 Depth=2
	s_or_b32 exec_lo, exec_lo, s23
	s_and_b32 s10, s10, exec_lo
	s_or_saveexec_b32 s22, s22
	v_mov_b32_e32 v56, 0x7f800001
	s_xor_b32 exec_lo, exec_lo, s22
	s_cbranch_execz .LBB4_787
.LBB4_942:                              ;   in Loop: Header=BB4_625 Depth=2
	v_cmp_ne_u16_sdwa s23, v17, v55 src0_sel:BYTE_3 src1_sel:DWORD
	v_mov_b32_e32 v56, 0
	s_andn2_b32 s10, s10, exec_lo
	s_and_b32 s23, s23, exec_lo
	s_or_b32 s10, s10, s23
	s_or_b32 exec_lo, exec_lo, s22
	s_and_saveexec_b32 s22, s10
	s_cbranch_execnz .LBB4_788
	s_branch .LBB4_789
.LBB4_943:                              ;   in Loop: Header=BB4_625 Depth=2
	v_cmp_eq_u16_sdwa s24, v47, v41 src0_sel:BYTE_3 src1_sel:DWORD
	s_mov_b32 s10, -1
	s_and_saveexec_b32 s23, s24
; %bb.944:                              ;   in Loop: Header=BB4_625 Depth=2
	s_xor_b32 s10, exec_lo, -1
; %bb.945:                              ;   in Loop: Header=BB4_625 Depth=2
	s_or_b32 exec_lo, exec_lo, s23
	s_and_b32 s10, s10, exec_lo
	s_or_saveexec_b32 s22, s22
	v_mov_b32_e32 v17, 0x7f800001
	s_xor_b32 exec_lo, exec_lo, s22
	s_cbranch_execz .LBB4_791
.LBB4_946:                              ;   in Loop: Header=BB4_625 Depth=2
	v_cmp_ne_u16_sdwa s23, v47, v55 src0_sel:BYTE_3 src1_sel:DWORD
	v_mov_b32_e32 v17, 0
	s_andn2_b32 s10, s10, exec_lo
	s_and_b32 s23, s23, exec_lo
	s_or_b32 s10, s10, s23
	s_or_b32 exec_lo, exec_lo, s22
	s_and_saveexec_b32 s22, s10
	s_cbranch_execnz .LBB4_792
	s_branch .LBB4_793
.LBB4_947:                              ;   in Loop: Header=BB4_625 Depth=2
	v_cmp_eq_u16_sdwa s24, v19, v41 src0_sel:BYTE_0 src1_sel:DWORD
	s_mov_b32 s10, -1
	s_and_saveexec_b32 s23, s24
; %bb.948:                              ;   in Loop: Header=BB4_625 Depth=2
	s_xor_b32 s10, exec_lo, -1
; %bb.949:                              ;   in Loop: Header=BB4_625 Depth=2
	s_or_b32 exec_lo, exec_lo, s23
	s_and_b32 s10, s10, exec_lo
	s_or_saveexec_b32 s22, s22
	v_mov_b32_e32 v47, 0x7f800001
	s_xor_b32 exec_lo, exec_lo, s22
	s_cbranch_execz .LBB4_803
.LBB4_950:                              ;   in Loop: Header=BB4_625 Depth=2
	v_cmp_ne_u16_sdwa s23, v19, v55 src0_sel:BYTE_0 src1_sel:DWORD
	v_mov_b32_e32 v47, 0
	s_andn2_b32 s10, s10, exec_lo
	s_and_b32 s23, s23, exec_lo
	s_or_b32 s10, s10, s23
	s_or_b32 exec_lo, exec_lo, s22
	s_and_saveexec_b32 s22, s10
	s_cbranch_execnz .LBB4_804
	s_branch .LBB4_805
.LBB4_951:                              ;   in Loop: Header=BB4_625 Depth=2
	v_cmp_eq_u16_sdwa s24, v97, v41 src0_sel:BYTE_0 src1_sel:DWORD
	s_mov_b32 s10, -1
	s_and_saveexec_b32 s23, s24
; %bb.952:                              ;   in Loop: Header=BB4_625 Depth=2
	s_xor_b32 s10, exec_lo, -1
; %bb.953:                              ;   in Loop: Header=BB4_625 Depth=2
	s_or_b32 exec_lo, exec_lo, s23
	s_and_b32 s10, s10, exec_lo
	s_or_saveexec_b32 s22, s22
	v_mov_b32_e32 v54, 0x7f800001
	s_xor_b32 exec_lo, exec_lo, s22
	s_cbranch_execz .LBB4_807
.LBB4_954:                              ;   in Loop: Header=BB4_625 Depth=2
	v_cmp_ne_u16_sdwa s23, v97, v55 src0_sel:BYTE_0 src1_sel:DWORD
	v_mov_b32_e32 v54, 0
	s_andn2_b32 s10, s10, exec_lo
	s_and_b32 s23, s23, exec_lo
	s_or_b32 s10, s10, s23
	s_or_b32 exec_lo, exec_lo, s22
	s_and_saveexec_b32 s22, s10
	s_cbranch_execnz .LBB4_808
	s_branch .LBB4_809
.LBB4_955:                              ;   in Loop: Header=BB4_625 Depth=2
	v_cmp_eq_u16_sdwa s24, v19, v41 src0_sel:BYTE_1 src1_sel:DWORD
	s_mov_b32 s10, -1
	s_and_saveexec_b32 s23, s24
; %bb.956:                              ;   in Loop: Header=BB4_625 Depth=2
	s_xor_b32 s10, exec_lo, -1
; %bb.957:                              ;   in Loop: Header=BB4_625 Depth=2
	s_or_b32 exec_lo, exec_lo, s23
	s_and_b32 s10, s10, exec_lo
	s_or_saveexec_b32 s22, s22
	v_mov_b32_e32 v47, 0x7f800001
	s_xor_b32 exec_lo, exec_lo, s22
	s_cbranch_execz .LBB4_819
.LBB4_958:                              ;   in Loop: Header=BB4_625 Depth=2
	v_cmp_ne_u16_sdwa s23, v19, v55 src0_sel:BYTE_1 src1_sel:DWORD
	v_mov_b32_e32 v47, 0
	s_andn2_b32 s10, s10, exec_lo
	s_and_b32 s23, s23, exec_lo
	s_or_b32 s10, s10, s23
	s_or_b32 exec_lo, exec_lo, s22
	s_and_saveexec_b32 s22, s10
	s_cbranch_execnz .LBB4_820
	s_branch .LBB4_821
.LBB4_959:                              ;   in Loop: Header=BB4_625 Depth=2
	v_cmp_eq_u16_sdwa s24, v97, v41 src0_sel:BYTE_1 src1_sel:DWORD
	s_mov_b32 s10, -1
	s_and_saveexec_b32 s23, s24
; %bb.960:                              ;   in Loop: Header=BB4_625 Depth=2
	s_xor_b32 s10, exec_lo, -1
; %bb.961:                              ;   in Loop: Header=BB4_625 Depth=2
	s_or_b32 exec_lo, exec_lo, s23
	s_and_b32 s10, s10, exec_lo
	s_or_saveexec_b32 s22, s22
	v_mov_b32_e32 v56, 0x7f800001
	s_xor_b32 exec_lo, exec_lo, s22
	s_cbranch_execz .LBB4_823
.LBB4_962:                              ;   in Loop: Header=BB4_625 Depth=2
	v_cmp_ne_u16_sdwa s23, v97, v55 src0_sel:BYTE_1 src1_sel:DWORD
	v_mov_b32_e32 v56, 0
	s_andn2_b32 s10, s10, exec_lo
	s_and_b32 s23, s23, exec_lo
	s_or_b32 s10, s10, s23
	s_or_b32 exec_lo, exec_lo, s22
	s_and_saveexec_b32 s22, s10
	s_cbranch_execnz .LBB4_824
	s_branch .LBB4_825
.LBB4_963:                              ;   in Loop: Header=BB4_625 Depth=2
	s_mov_b32 s10, -1
	s_mov_b32 s23, exec_lo
	v_cmpx_eq_u16_e32 0x80, v57
; %bb.964:                              ;   in Loop: Header=BB4_625 Depth=2
	s_xor_b32 s10, exec_lo, -1
; %bb.965:                              ;   in Loop: Header=BB4_625 Depth=2
	s_or_b32 exec_lo, exec_lo, s23
	s_and_b32 s10, s10, exec_lo
                                        ; implicit-def: $vgpr57
	s_or_saveexec_b32 s22, s22
	v_mov_b32_e32 v56, 0x7f800001
	s_xor_b32 exec_lo, exec_lo, s22
	s_cbranch_execz .LBB4_835
.LBB4_966:                              ;   in Loop: Header=BB4_625 Depth=2
	v_cmp_ne_u16_e32 vcc_lo, 0, v57
	v_mov_b32_e32 v56, 0
	s_andn2_b32 s10, s10, exec_lo
	s_and_b32 s23, vcc_lo, exec_lo
	s_or_b32 s10, s10, s23
	s_or_b32 exec_lo, exec_lo, s22
	s_and_saveexec_b32 s22, s10
	s_cbranch_execnz .LBB4_836
	s_branch .LBB4_837
.LBB4_967:                              ;   in Loop: Header=BB4_625 Depth=2
	v_cmp_eq_u16_sdwa s24, v18, v41 src0_sel:BYTE_0 src1_sel:DWORD
	s_mov_b32 s10, -1
	s_and_saveexec_b32 s23, s24
; %bb.968:                              ;   in Loop: Header=BB4_625 Depth=2
	s_xor_b32 s10, exec_lo, -1
; %bb.969:                              ;   in Loop: Header=BB4_625 Depth=2
	s_or_b32 exec_lo, exec_lo, s23
	s_and_b32 s10, s10, exec_lo
	s_or_saveexec_b32 s22, s22
	v_mov_b32_e32 v57, 0x7f800001
	s_xor_b32 exec_lo, exec_lo, s22
	s_cbranch_execz .LBB4_839
.LBB4_970:                              ;   in Loop: Header=BB4_625 Depth=2
	v_cmp_ne_u16_sdwa s23, v18, v55 src0_sel:BYTE_0 src1_sel:DWORD
	v_mov_b32_e32 v57, 0
	s_andn2_b32 s10, s10, exec_lo
	s_and_b32 s23, s23, exec_lo
	s_or_b32 s10, s10, s23
	s_or_b32 exec_lo, exec_lo, s22
	v_lshl_or_b32 v81, v18, 16, v97
	s_and_saveexec_b32 s22, s10
	s_cbranch_execnz .LBB4_840
	s_branch .LBB4_841
.LBB4_971:                              ;   in Loop: Header=BB4_625 Depth=2
	v_cmp_eq_u16_sdwa s24, v19, v41 src0_sel:BYTE_3 src1_sel:DWORD
	s_mov_b32 s10, -1
	s_and_saveexec_b32 s23, s24
; %bb.972:                              ;   in Loop: Header=BB4_625 Depth=2
	s_xor_b32 s10, exec_lo, -1
; %bb.973:                              ;   in Loop: Header=BB4_625 Depth=2
	s_or_b32 exec_lo, exec_lo, s23
	s_and_b32 s10, s10, exec_lo
	s_or_saveexec_b32 s22, s22
	v_mov_b32_e32 v97, 0x7f800001
	s_xor_b32 exec_lo, exec_lo, s22
	s_cbranch_execz .LBB4_851
.LBB4_974:                              ;   in Loop: Header=BB4_625 Depth=2
	v_cmp_ne_u16_sdwa s23, v19, v55 src0_sel:BYTE_3 src1_sel:DWORD
	v_mov_b32_e32 v97, 0
	s_andn2_b32 s10, s10, exec_lo
	s_and_b32 s23, s23, exec_lo
	s_or_b32 s10, s10, s23
	s_or_b32 exec_lo, exec_lo, s22
	s_and_saveexec_b32 s22, s10
	s_cbranch_execnz .LBB4_852
	s_branch .LBB4_853
.LBB4_975:                              ;   in Loop: Header=BB4_625 Depth=2
	v_cmp_eq_u16_sdwa s24, v81, v41 src0_sel:BYTE_3 src1_sel:DWORD
	s_mov_b32 s10, -1
	s_and_saveexec_b32 s23, s24
; %bb.976:                              ;   in Loop: Header=BB4_625 Depth=2
	s_xor_b32 s10, exec_lo, -1
; %bb.977:                              ;   in Loop: Header=BB4_625 Depth=2
	s_or_b32 exec_lo, exec_lo, s23
	s_and_b32 s10, s10, exec_lo
	s_or_saveexec_b32 s22, s22
	v_mov_b32_e32 v19, 0x7f800001
	s_xor_b32 exec_lo, exec_lo, s22
	s_cbranch_execz .LBB4_855
.LBB4_978:                              ;   in Loop: Header=BB4_625 Depth=2
	v_cmp_ne_u16_sdwa s23, v81, v55 src0_sel:BYTE_3 src1_sel:DWORD
	v_mov_b32_e32 v19, 0
	s_andn2_b32 s10, s10, exec_lo
	s_and_b32 s23, s23, exec_lo
	s_or_b32 s10, s10, s23
	s_or_b32 exec_lo, exec_lo, s22
	s_and_saveexec_b32 s22, s10
	s_cbranch_execnz .LBB4_856
	s_branch .LBB4_857
.LBB4_979:                              ;   in Loop: Header=BB4_44 Depth=1
	s_or_b32 exec_lo, exec_lo, s12
	s_or_b32 exec_lo, exec_lo, s11
	s_and_saveexec_b32 s10, s7
	s_cbranch_execz .LBB4_622
.LBB4_980:                              ;   in Loop: Header=BB4_44 Depth=1
	s_and_saveexec_b32 s11, s19
	s_xor_b32 s11, exec_lo, s11
	s_cbranch_execz .LBB4_995
; %bb.981:                              ;   in Loop: Header=BB4_44 Depth=1
	s_and_saveexec_b32 s12, s8
	s_cbranch_execz .LBB4_994
; %bb.982:                              ;   in Loop: Header=BB4_44 Depth=1
	s_mov_b32 s23, exec_lo
	s_mov_b32 s22, exec_lo
	v_mbcnt_lo_u32_b32 v17, s23, 0
	s_waitcnt vmcnt(0) lgkmcnt(0)
	s_waitcnt_vscnt null, 0x0
	buffer_gl1_inv
	buffer_gl0_inv
	v_cmpx_eq_u32_e32 0, v17
	s_cbranch_execz .LBB4_984
; %bb.983:                              ;   in Loop: Header=BB4_44 Depth=1
	s_bcnt1_i32_b32 s23, s23
	v_mov_b32_e32 v54, s23
	ds_add_u64 v0, v[54:55]
	s_trap 2
.LBB4_984:                              ;   in Loop: Header=BB4_44 Depth=1
	s_or_b32 exec_lo, exec_lo, s22
	s_trap 2
	ds_read_b64 v[17:18], v0
	s_waitcnt lgkmcnt(0)
	buffer_gl0_inv
	v_add_co_u32 v2, vcc_lo, v2, v102
	v_add_co_ci_u32_e64 v3, null, 0, v3, vcc_lo
	s_mov_b32 s22, exec_lo
	v_cmpx_lt_u64_e64 v[17:18], v[2:3]
	s_cbranch_execz .LBB4_993
; %bb.985:                              ;   in Loop: Header=BB4_44 Depth=1
	s_mov_b32 s23, 0
	s_mov_b32 s26, 0
                                        ; implicit-def: $sgpr24
                                        ; implicit-def: $sgpr25
	s_inst_prefetch 0x1
	s_branch .LBB4_987
	.p2align	6
.LBB4_986:                              ;   in Loop: Header=BB4_987 Depth=2
	s_or_b32 exec_lo, exec_lo, s28
	s_and_b32 s27, exec_lo, s29
	s_or_b32 s23, s27, s23
	s_andn2_b32 s24, s24, exec_lo
	s_and_b32 s27, s25, exec_lo
	s_or_b32 s24, s24, s27
	s_andn2_b32 exec_lo, exec_lo, s23
	s_cbranch_execz .LBB4_991
.LBB4_987:                              ;   Parent Loop BB4_44 Depth=1
                                        ; =>  This Inner Loop Header: Depth=2
	s_add_i32 s26, s26, 1
	s_cmpk_lg_i32 s26, 0x2710
	s_cselect_b32 s27, -1, 0
	s_and_b32 vcc_lo, exec_lo, s27
	s_cbranch_vccz .LBB4_989
; %bb.988:                              ;   in Loop: Header=BB4_987 Depth=2
	s_mov_b32 s29, -1
	s_or_b32 s25, s25, exec_lo
	s_and_saveexec_b32 s28, s27
	s_cbranch_execz .LBB4_986
	s_branch .LBB4_990
	.p2align	6
.LBB4_989:                              ;   in Loop: Header=BB4_987 Depth=2
	s_trap 2
	ds_read_b64 v[17:18], v0
	s_andn2_b32 s27, s27, exec_lo
	s_mov_b32 s26, 0
	s_waitcnt lgkmcnt(0)
	flat_load_dword v17, v[17:18] glc dlc
	s_waitcnt vmcnt(0) lgkmcnt(0)
	buffer_gl1_inv
	buffer_gl0_inv
	v_cmp_eq_u32_e32 vcc_lo, 0, v17
	s_and_b32 s28, vcc_lo, exec_lo
	s_or_b32 s27, s27, s28
	s_mov_b32 s29, -1
	s_or_b32 s25, s25, exec_lo
	s_and_saveexec_b32 s28, s27
	s_cbranch_execz .LBB4_986
.LBB4_990:                              ;   in Loop: Header=BB4_987 Depth=2
	s_sleep 1
	s_trap 2
	ds_read_b64 v[17:18], v0
	s_waitcnt lgkmcnt(0)
	buffer_gl0_inv
	s_andn2_b32 s25, s25, exec_lo
	v_cmp_ge_u64_e32 vcc_lo, v[17:18], v[2:3]
	s_orn2_b32 s29, vcc_lo, exec_lo
	s_branch .LBB4_986
.LBB4_991:                              ;   in Loop: Header=BB4_44 Depth=1
	s_inst_prefetch 0x2
	s_or_b32 exec_lo, exec_lo, s23
	s_and_saveexec_b32 s23, s24
	s_xor_b32 s23, exec_lo, s23
	s_cbranch_execz .LBB4_993
; %bb.992:                              ;   in Loop: Header=BB4_44 Depth=1
	ds_write_b32 v0, v119
	s_trap 2
.LBB4_993:                              ;   in Loop: Header=BB4_44 Depth=1
	s_or_b32 exec_lo, exec_lo, s22
	;;#ASMSTART
	s_wakeup
	;;#ASMEND
.LBB4_994:                              ;   in Loop: Header=BB4_44 Depth=1
	s_or_b32 exec_lo, exec_lo, s12
.LBB4_995:                              ;   in Loop: Header=BB4_44 Depth=1
	s_andn2_saveexec_b32 s11, s11
	s_cbranch_execz .LBB4_997
; %bb.996:                              ;   in Loop: Header=BB4_44 Depth=1
	s_waitcnt vmcnt(0) lgkmcnt(0)
	s_waitcnt_vscnt null, 0x0
	buffer_gl1_inv
	buffer_gl0_inv
	s_barrier
.LBB4_997:                              ;   in Loop: Header=BB4_44 Depth=1
	s_or_b32 exec_lo, exec_lo, s11
	s_or_b32 exec_lo, exec_lo, s10
	s_and_saveexec_b32 s10, s9
	s_cbranch_execz .LBB4_43
.LBB4_998:                              ;   in Loop: Header=BB4_44 Depth=1
	v_add_co_u32 v38, vcc_lo, v38, 1
	v_add_co_ci_u32_e64 v39, null, 0, v39, vcc_lo
	s_waitcnt vmcnt(0) lgkmcnt(0)
	s_waitcnt_vscnt null, 0x0
	flat_store_dwordx2 v[48:49], v[38:39]
	s_branch .LBB4_43
.LBB4_999:
	s_or_b32 exec_lo, exec_lo, s20
	s_or_b32 exec_lo, exec_lo, s17
	s_and_saveexec_b32 s5, s16
	s_cbranch_execz .LBB4_28
.LBB4_1000:
	s_waitcnt vmcnt(0) lgkmcnt(0)
	flat_store_dwordx2 v[29:30], v[38:39] offset:104
	s_or_b32 exec_lo, exec_lo, s5
	s_and_saveexec_b32 s5, s4
	s_cbranch_execnz .LBB4_29
	s_branch .LBB4_30
.LBB4_1001:
	s_inst_prefetch 0x2
	s_or_b32 exec_lo, exec_lo, s8
	s_and_saveexec_b32 s8, s9
	s_xor_b32 s8, exec_lo, s8
	s_cbranch_execz .LBB4_1003
; %bb.1002:
	v_mov_b32_e32 v0, 1
	ds_write_b32 v0, v0
	s_trap 2
.LBB4_1003:
	s_or_b32 exec_lo, exec_lo, s7
	;;#ASMSTART
	s_wakeup
	;;#ASMEND
.LBB4_1004:
	s_or_b32 exec_lo, exec_lo, s6
.LBB4_1005:
	s_andn2_saveexec_b32 s5, s5
	s_cbranch_execz .LBB4_1007
; %bb.1006:
	s_waitcnt lgkmcnt(0)
	s_waitcnt_vscnt null, 0x0
	buffer_gl1_inv
	buffer_gl0_inv
	s_barrier
.LBB4_1007:
	s_or_b32 exec_lo, exec_lo, s4
	s_clause 0x19
	buffer_load_dword v89, off, s[0:3], s32
	buffer_load_dword v88, off, s[0:3], s32 offset:4
	buffer_load_dword v79, off, s[0:3], s32 offset:8
	buffer_load_dword v78, off, s[0:3], s32 offset:12
	buffer_load_dword v77, off, s[0:3], s32 offset:16
	buffer_load_dword v76, off, s[0:3], s32 offset:20
	buffer_load_dword v75, off, s[0:3], s32 offset:24
	buffer_load_dword v74, off, s[0:3], s32 offset:28
	buffer_load_dword v73, off, s[0:3], s32 offset:32
	buffer_load_dword v72, off, s[0:3], s32 offset:36
	buffer_load_dword v63, off, s[0:3], s32 offset:40
	buffer_load_dword v62, off, s[0:3], s32 offset:44
	buffer_load_dword v61, off, s[0:3], s32 offset:48
	buffer_load_dword v60, off, s[0:3], s32 offset:52
	buffer_load_dword v59, off, s[0:3], s32 offset:56
	buffer_load_dword v58, off, s[0:3], s32 offset:60
	buffer_load_dword v57, off, s[0:3], s32 offset:64
	buffer_load_dword v56, off, s[0:3], s32 offset:68
	buffer_load_dword v47, off, s[0:3], s32 offset:72
	buffer_load_dword v46, off, s[0:3], s32 offset:76
	buffer_load_dword v45, off, s[0:3], s32 offset:80
	buffer_load_dword v44, off, s[0:3], s32 offset:84
	buffer_load_dword v43, off, s[0:3], s32 offset:88
	buffer_load_dword v42, off, s[0:3], s32 offset:92
	buffer_load_dword v41, off, s[0:3], s32 offset:96
	buffer_load_dword v40, off, s[0:3], s32 offset:100
	s_waitcnt vmcnt(0) lgkmcnt(0)
	s_setpc_b64 s[30:31]
.Lfunc_end4:
	.size	_ZN12_GLOBAL__N_17runRingI11rccl_float813FuncPreMulSumIS1_E7ProtoLLLi0ELi4ELi0EEEviiP15ncclDevWorkColl, .Lfunc_end4-_ZN12_GLOBAL__N_17runRingI11rccl_float813FuncPreMulSumIS1_E7ProtoLLLi0ELi4ELi0EEEviiP15ncclDevWorkColl
                                        ; -- End function
	.set .L_ZN12_GLOBAL__N_17runRingI11rccl_float813FuncPreMulSumIS1_E7ProtoLLLi0ELi4ELi0EEEviiP15ncclDevWorkColl.num_vgpr, 120
	.set .L_ZN12_GLOBAL__N_17runRingI11rccl_float813FuncPreMulSumIS1_E7ProtoLLLi0ELi4ELi0EEEviiP15ncclDevWorkColl.num_agpr, 0
	.set .L_ZN12_GLOBAL__N_17runRingI11rccl_float813FuncPreMulSumIS1_E7ProtoLLLi0ELi4ELi0EEEviiP15ncclDevWorkColl.numbered_sgpr, 44
	.set .L_ZN12_GLOBAL__N_17runRingI11rccl_float813FuncPreMulSumIS1_E7ProtoLLLi0ELi4ELi0EEEviiP15ncclDevWorkColl.num_named_barrier, 0
	.set .L_ZN12_GLOBAL__N_17runRingI11rccl_float813FuncPreMulSumIS1_E7ProtoLLLi0ELi4ELi0EEEviiP15ncclDevWorkColl.private_seg_size, 108
	.set .L_ZN12_GLOBAL__N_17runRingI11rccl_float813FuncPreMulSumIS1_E7ProtoLLLi0ELi4ELi0EEEviiP15ncclDevWorkColl.uses_vcc, 1
	.set .L_ZN12_GLOBAL__N_17runRingI11rccl_float813FuncPreMulSumIS1_E7ProtoLLLi0ELi4ELi0EEEviiP15ncclDevWorkColl.uses_flat_scratch, 1
	.set .L_ZN12_GLOBAL__N_17runRingI11rccl_float813FuncPreMulSumIS1_E7ProtoLLLi0ELi4ELi0EEEviiP15ncclDevWorkColl.has_dyn_sized_stack, 0
	.set .L_ZN12_GLOBAL__N_17runRingI11rccl_float813FuncPreMulSumIS1_E7ProtoLLLi0ELi4ELi0EEEviiP15ncclDevWorkColl.has_recursion, 0
	.set .L_ZN12_GLOBAL__N_17runRingI11rccl_float813FuncPreMulSumIS1_E7ProtoLLLi0ELi4ELi0EEEviiP15ncclDevWorkColl.has_indirect_call, 0
	.section	.AMDGPU.csdata,"",@progbits
; Function info:
; codeLenInByte = 36608
; TotalNumSgprs: 46
; NumVgprs: 120
; ScratchSize: 108
; MemoryBound: 0
	.text
	.p2align	2                               ; -- Begin function _Z56ncclDevFunc_ReduceScatter_RING_LL_PreMulSum_f8e4m3_0_0_4v
	.type	_Z56ncclDevFunc_ReduceScatter_RING_LL_PreMulSum_f8e4m3_0_0_4v,@function
_Z56ncclDevFunc_ReduceScatter_RING_LL_PreMulSum_f8e4m3_0_0_4v: ; @_Z56ncclDevFunc_ReduceScatter_RING_LL_PreMulSum_f8e4m3_0_0_4v
; %bb.0:
	s_waitcnt vmcnt(0) expcnt(0) lgkmcnt(0)
	s_mov_b32 s57, s33
	s_mov_b32 s33, s32
	s_or_saveexec_b32 s4, -1
	buffer_store_dword v42, off, s[0:3], s33 offset:8 ; 4-byte Folded Spill
	s_mov_b32 exec_lo, s4
	s_addk_i32 s32, 0x200
	buffer_store_dword v40, off, s[0:3], s33 offset:4 ; 4-byte Folded Spill
	buffer_store_dword v41, off, s[0:3], s33 ; 4-byte Folded Spill
	v_writelane_b32 v42, s30, 0
	v_writelane_b32 v42, s31, 1
	s_trap 2
	ds_read_b32 v0, v0
	v_and_b32_e32 v40, 0x3ff, v31
	s_mov_b32 s46, s12
	s_mov_b64 s[44:45], s[8:9]
	s_mov_b32 s4, exec_lo
	s_waitcnt lgkmcnt(0)
	v_cmpx_lt_i32_e64 v40, v0
	s_cbranch_execz .LBB5_5
; %bb.1:
	s_load_dword s5, s[44:45], 0x0
	v_mov_b32_e32 v1, 0
	v_mov_b32_e32 v3, v40
                                        ; implicit-def: $vgpr4
	s_waitcnt lgkmcnt(0)
	s_cmp_lt_u32 s46, s5
	s_cselect_b32 s5, 12, 18
	s_add_u32 s6, s44, s5
	s_addc_u32 s7, s45, 0
	s_mov_b32 s5, 0
	global_load_ushort v1, v1, s[6:7]
	s_trap 2
	ds_read_b32 v2, v0
	s_mov_b32 s6, 0
	s_waitcnt vmcnt(0) lgkmcnt(0)
	v_mul_lo_u32 v2, v2, v1
	s_branch .LBB5_3
	.p2align	6
.LBB5_2:                                ;   in Loop: Header=BB5_3 Depth=1
	s_or_b32 exec_lo, exec_lo, s7
	v_add_nc_u32_e32 v3, v3, v1
	v_add_nc_u32_e32 v4, v4, v2
	v_cmp_ge_i32_e32 vcc_lo, v3, v0
	s_or_b32 s6, vcc_lo, s6
	s_andn2_b32 exec_lo, exec_lo, s6
	s_cbranch_execz .LBB5_5
.LBB5_3:                                ; =>This Inner Loop Header: Depth=1
	ds_read_b32 v5, v4
	s_mov_b32 s7, exec_lo
	s_waitcnt lgkmcnt(0)
	v_and_b32_e32 v5, 0x1000000, v5
	v_cmpx_ne_u32_e32 0, v5
	s_cbranch_execz .LBB5_2
; %bb.4:                                ;   in Loop: Header=BB5_3 Depth=1
	ds_read_b64 v[5:6], v4 offset:104
	s_waitcnt lgkmcnt(0)
	flat_load_ubyte v5, v[5:6]
	v_mov_b32_e32 v6, s5
	s_waitcnt vmcnt(0) lgkmcnt(0)
	v_and_b32_e32 v5, 0xffff, v5
	ds_write_b64 v4, v[5:6] offset:104
	s_branch .LBB5_2
.LBB5_5:
	s_or_b32 exec_lo, exec_lo, s4
	s_waitcnt lgkmcnt(0)
	s_waitcnt_vscnt null, 0x0
	s_barrier
	buffer_gl0_inv
	s_trap 2
	ds_read_b32 v0, v0
	s_waitcnt lgkmcnt(0)
	v_cmp_gt_i32_e32 vcc_lo, 1, v0
	s_cbranch_vccnz .LBB5_13
; %bb.6:
	v_mov_b32_e32 v41, 5
	s_mov_b32 s47, 0
	s_inst_prefetch 0x1
	s_branch .LBB5_8
	.p2align	6
.LBB5_7:                                ;   in Loop: Header=BB5_8 Depth=1
	s_or_b32 exec_lo, exec_lo, s56
	s_trap 2
	ds_read_b32 v0, v0
	s_add_i32 s47, s47, 1
	s_waitcnt lgkmcnt(0)
	v_cmp_lt_i32_e32 vcc_lo, s47, v0
	s_cbranch_vccz .LBB5_13
.LBB5_8:                                ; =>This Inner Loop Header: Depth=1
	s_trap 2
	ds_read_b32 v0, v0
	s_cmp_eq_u32 s47, 0
	s_cbranch_scc1 .LBB5_11
; %bb.9:                                ;   in Loop: Header=BB5_8 Depth=1
	s_trap 2
	s_waitcnt lgkmcnt(0)
	ds_read_b32 v1, v0
	s_waitcnt lgkmcnt(0)
	v_xor_b32_e32 v1, v1, v0
	v_and_b32_e32 v1, 0xff0000, v1
	v_cmp_eq_u32_e32 vcc_lo, 0, v1
	s_cbranch_vccnz .LBB5_11
; %bb.10:                               ;   in Loop: Header=BB5_8 Depth=1
	s_barrier
	buffer_gl0_inv
	ds_read_b32 v0, v0
.LBB5_11:                               ;   in Loop: Header=BB5_8 Depth=1
	s_waitcnt lgkmcnt(0)
	v_lshlrev_b32_sdwa v1, v41, v0 dst_sel:DWORD dst_unused:UNUSED_PAD src0_sel:DWORD src1_sel:BYTE_2
	s_mov_b32 s56, exec_lo
	v_cmpx_lt_u32_e64 v40, v1
	s_cbranch_execz .LBB5_7
; %bb.12:                               ;   in Loop: Header=BB5_8 Depth=1
	s_mov_b64 s[4:5], src_shared_base
	v_mov_b32_e32 v0, v40
	v_mov_b32_e32 v3, s5
	s_getpc_b64 s[6:7]
	s_add_u32 s6, s6, _ZN12_GLOBAL__N_17runRingI11rccl_float813FuncPreMulSumIS1_E7ProtoLLLi0ELi4ELi0EEEviiP15ncclDevWorkColl@rel32@lo+4
	s_addc_u32 s7, s7, _ZN12_GLOBAL__N_17runRingI11rccl_float813FuncPreMulSumIS1_E7ProtoLLLi0ELi4ELi0EEEviiP15ncclDevWorkColl@rel32@hi+12
	s_mov_b64 s[8:9], s[44:45]
	s_mov_b32 s12, s46
	s_swappc_b64 s[30:31], s[6:7]
	s_branch .LBB5_7
.LBB5_13:
	s_inst_prefetch 0x2
	s_clause 0x1
	buffer_load_dword v41, off, s[0:3], s33
	buffer_load_dword v40, off, s[0:3], s33 offset:4
	v_readlane_b32 s30, v42, 0
	v_readlane_b32 s31, v42, 1
	s_mov_b32 s32, s33
	s_or_saveexec_b32 s4, -1
	buffer_load_dword v42, off, s[0:3], s33 offset:8 ; 4-byte Folded Reload
	s_mov_b32 exec_lo, s4
	s_mov_b32 s33, s57
	s_waitcnt vmcnt(0)
	s_setpc_b64 s[30:31]
.Lfunc_end5:
	.size	_Z56ncclDevFunc_ReduceScatter_RING_LL_PreMulSum_f8e4m3_0_0_4v, .Lfunc_end5-_Z56ncclDevFunc_ReduceScatter_RING_LL_PreMulSum_f8e4m3_0_0_4v
                                        ; -- End function
	.set .L_Z56ncclDevFunc_ReduceScatter_RING_LL_PreMulSum_f8e4m3_0_0_4v.num_vgpr, max(43, .L_ZN12_GLOBAL__N_17runRingI11rccl_float813FuncPreMulSumIS1_E7ProtoLLLi0ELi4ELi0EEEviiP15ncclDevWorkColl.num_vgpr)
	.set .L_Z56ncclDevFunc_ReduceScatter_RING_LL_PreMulSum_f8e4m3_0_0_4v.num_agpr, max(0, .L_ZN12_GLOBAL__N_17runRingI11rccl_float813FuncPreMulSumIS1_E7ProtoLLLi0ELi4ELi0EEEviiP15ncclDevWorkColl.num_agpr)
	.set .L_Z56ncclDevFunc_ReduceScatter_RING_LL_PreMulSum_f8e4m3_0_0_4v.numbered_sgpr, max(58, .L_ZN12_GLOBAL__N_17runRingI11rccl_float813FuncPreMulSumIS1_E7ProtoLLLi0ELi4ELi0EEEviiP15ncclDevWorkColl.numbered_sgpr)
	.set .L_Z56ncclDevFunc_ReduceScatter_RING_LL_PreMulSum_f8e4m3_0_0_4v.num_named_barrier, max(0, .L_ZN12_GLOBAL__N_17runRingI11rccl_float813FuncPreMulSumIS1_E7ProtoLLLi0ELi4ELi0EEEviiP15ncclDevWorkColl.num_named_barrier)
	.set .L_Z56ncclDevFunc_ReduceScatter_RING_LL_PreMulSum_f8e4m3_0_0_4v.private_seg_size, 16+max(.L_ZN12_GLOBAL__N_17runRingI11rccl_float813FuncPreMulSumIS1_E7ProtoLLLi0ELi4ELi0EEEviiP15ncclDevWorkColl.private_seg_size)
	.set .L_Z56ncclDevFunc_ReduceScatter_RING_LL_PreMulSum_f8e4m3_0_0_4v.uses_vcc, or(1, .L_ZN12_GLOBAL__N_17runRingI11rccl_float813FuncPreMulSumIS1_E7ProtoLLLi0ELi4ELi0EEEviiP15ncclDevWorkColl.uses_vcc)
	.set .L_Z56ncclDevFunc_ReduceScatter_RING_LL_PreMulSum_f8e4m3_0_0_4v.uses_flat_scratch, or(0, .L_ZN12_GLOBAL__N_17runRingI11rccl_float813FuncPreMulSumIS1_E7ProtoLLLi0ELi4ELi0EEEviiP15ncclDevWorkColl.uses_flat_scratch)
	.set .L_Z56ncclDevFunc_ReduceScatter_RING_LL_PreMulSum_f8e4m3_0_0_4v.has_dyn_sized_stack, or(0, .L_ZN12_GLOBAL__N_17runRingI11rccl_float813FuncPreMulSumIS1_E7ProtoLLLi0ELi4ELi0EEEviiP15ncclDevWorkColl.has_dyn_sized_stack)
	.set .L_Z56ncclDevFunc_ReduceScatter_RING_LL_PreMulSum_f8e4m3_0_0_4v.has_recursion, or(1, .L_ZN12_GLOBAL__N_17runRingI11rccl_float813FuncPreMulSumIS1_E7ProtoLLLi0ELi4ELi0EEEviiP15ncclDevWorkColl.has_recursion)
	.set .L_Z56ncclDevFunc_ReduceScatter_RING_LL_PreMulSum_f8e4m3_0_0_4v.has_indirect_call, or(0, .L_ZN12_GLOBAL__N_17runRingI11rccl_float813FuncPreMulSumIS1_E7ProtoLLLi0ELi4ELi0EEEviiP15ncclDevWorkColl.has_indirect_call)
	.section	.AMDGPU.csdata,"",@progbits
; Function info:
; codeLenInByte = 644
; TotalNumSgprs: 60
; NumVgprs: 120
; ScratchSize: 124
; MemoryBound: 0
	.text
	.p2alignl 6, 3214868480
	.fill 48, 4, 3214868480
	.section	.AMDGPU.gpr_maximums,"",@progbits
	.set amdgpu.max_num_vgpr, 120
	.set amdgpu.max_num_agpr, 0
	.set amdgpu.max_num_sgpr, 58
	.text
	.type	__hip_cuid_7bf0b22e1df8ab8f,@object ; @__hip_cuid_7bf0b22e1df8ab8f
	.section	.bss,"aw",@nobits
	.globl	__hip_cuid_7bf0b22e1df8ab8f
__hip_cuid_7bf0b22e1df8ab8f:
	.byte	0                               ; 0x0
	.size	__hip_cuid_7bf0b22e1df8ab8f, 1

	.ident	"AMD clang version 22.0.0git (https://github.com/RadeonOpenCompute/llvm-project roc-7.2.4 26084 f58b06dce1f9c15707c5f808fd002e18c2accf7e)"
	.section	".note.GNU-stack","",@progbits
	.addrsig
	.addrsig_sym _Z56ncclDevFunc_ReduceScatter_RING_LL_PreMulSum_f8e4m3_0_0_1v
	.addrsig_sym _Z56ncclDevFunc_ReduceScatter_RING_LL_PreMulSum_f8e4m3_0_0_2v
	.addrsig_sym _Z56ncclDevFunc_ReduceScatter_RING_LL_PreMulSum_f8e4m3_0_0_4v
	.addrsig_sym ncclShmem
	.addrsig_sym __hip_cuid_7bf0b22e1df8ab8f
	.amdgpu_metadata
---
amdhsa.kernels:  []
amdhsa.target:   amdgcn-amd-amdhsa--gfx1030
amdhsa.version:
  - 1
  - 2
...

	.end_amdgpu_metadata
